;; amdgpu-corpus repo=ROCm/rocFFT kind=compiled arch=gfx1030 opt=O3
	.text
	.amdgcn_target "amdgcn-amd-amdhsa--gfx1030"
	.amdhsa_code_object_version 6
	.protected	bluestein_single_fwd_len1248_dim1_dp_op_CI_CI ; -- Begin function bluestein_single_fwd_len1248_dim1_dp_op_CI_CI
	.globl	bluestein_single_fwd_len1248_dim1_dp_op_CI_CI
	.p2align	8
	.type	bluestein_single_fwd_len1248_dim1_dp_op_CI_CI,@function
bluestein_single_fwd_len1248_dim1_dp_op_CI_CI: ; @bluestein_single_fwd_len1248_dim1_dp_op_CI_CI
; %bb.0:
	s_load_dwordx4 s[16:19], s[4:5], 0x28
	v_mul_u32_u24_e32 v1, 0x4ed, v0
	s_mov_b64 s[50:51], s[2:3]
	s_mov_b64 s[48:49], s[0:1]
	v_mov_b32_e32 v11, 0
	s_add_u32 s48, s48, s7
	v_lshrrev_b32_e32 v1, 16, v1
	s_addc_u32 s49, s49, 0
	s_mov_b32 s0, exec_lo
	v_add_nc_u32_e32 v10, s6, v1
	s_waitcnt lgkmcnt(0)
	v_cmpx_gt_u64_e64 s[16:17], v[10:11]
	s_cbranch_execz .LBB0_10
; %bb.1:
	s_clause 0x1
	s_load_dwordx4 s[0:3], s[4:5], 0x18
	s_load_dwordx4 s[12:15], s[4:5], 0x0
	v_mul_lo_u16 v1, v1, 52
	v_mov_b32_e32 v11, v10
	v_sub_nc_u16 v102, v0, v1
	v_and_b32_e32 v134, 0xffff, v102
	v_lshlrev_b32_e32 v100, 4, v134
	v_or_b32_e32 v26, 0x340, v134
	v_add_co_u32 v103, null, v134, 52
	s_waitcnt lgkmcnt(0)
	s_load_dwordx4 s[8:11], s[0:1], 0x0
	v_add_co_u32 v88, s0, s12, v100
	v_add_co_ci_u32_e64 v89, null, s13, 0, s0
	s_clause 0x2
	global_load_dwordx4 v[207:210], v100, s[12:13]
	global_load_dwordx4 v[191:194], v100, s[12:13] offset:832
	global_load_dwordx4 v[187:190], v100, s[12:13] offset:1664
	v_add_co_u32 v92, vcc_lo, 0x2000, v88
	v_add_co_ci_u32_e32 v93, vcc_lo, 0, v89, vcc_lo
	v_add_co_u32 v2, vcc_lo, 0x2800, v88
	v_add_co_ci_u32_e32 v3, vcc_lo, 0, v89, vcc_lo
	buffer_store_dword v11, off, s[48:51], 0 offset:40 ; 4-byte Folded Spill
	buffer_store_dword v12, off, s[48:51], 0 offset:44 ; 4-byte Folded Spill
	v_add_co_u32 v6, vcc_lo, 0x800, v88
	v_add_co_ci_u32_e32 v7, vcc_lo, 0, v89, vcc_lo
	v_add_co_u32 v8, vcc_lo, 0x3000, v88
	s_waitcnt lgkmcnt(0)
	v_mad_u64_u32 v[0:1], null, s10, v10, 0
	v_mad_u64_u32 v[4:5], null, s8, v134, 0
	v_add_co_ci_u32_e32 v9, vcc_lo, 0, v89, vcc_lo
	s_mul_i32 s1, s9, 0x2700
	s_mul_hi_u32 s7, s8, 0x2700
	v_mad_u64_u32 v[10:11], null, s11, v10, v[1:2]
	v_mad_u64_u32 v[13:14], null, s9, v134, v[5:6]
	v_add_co_u32 v11, vcc_lo, 0x1000, v88
	v_add_co_ci_u32_e32 v12, vcc_lo, 0, v89, vcc_lo
	v_mov_b32_e32 v1, v10
	v_add_co_u32 v14, vcc_lo, 0x3800, v88
	v_mov_b32_e32 v5, v13
	v_add_co_ci_u32_e32 v15, vcc_lo, 0, v89, vcc_lo
	v_lshlrev_b64 v[0:1], 4, v[0:1]
	s_mul_i32 s0, s8, 0x2700
	v_lshlrev_b64 v[4:5], 4, v[4:5]
	s_add_i32 s1, s7, s1
	s_mul_hi_u32 s11, s8, 0xffffdc40
	s_mul_i32 s10, s9, 0xffffdc40
	v_add_co_u32 v13, vcc_lo, s18, v0
	v_add_co_ci_u32_e32 v34, vcc_lo, s19, v1, vcc_lo
	s_mul_i32 s6, s8, 0xffffdc40
	v_add_co_u32 v0, vcc_lo, v13, v4
	v_add_co_ci_u32_e32 v1, vcc_lo, v34, v5, vcc_lo
	s_sub_i32 s7, s11, s8
	v_add_co_u32 v4, vcc_lo, v0, s0
	v_add_co_ci_u32_e32 v5, vcc_lo, s1, v1, vcc_lo
	s_add_i32 s7, s7, s10
	v_add_co_u32 v16, vcc_lo, v4, s6
	v_add_co_ci_u32_e32 v17, vcc_lo, s7, v5, vcc_lo
	v_mad_u64_u32 v[20:21], null, s8, v26, 0
	v_add_co_u32 v76, vcc_lo, 0x1800, v88
	v_add_co_ci_u32_e32 v77, vcc_lo, 0, v89, vcc_lo
	v_add_co_u32 v18, vcc_lo, v16, s0
	v_add_co_ci_u32_e32 v19, vcc_lo, s1, v17, vcc_lo
	v_mov_b32_e32 v10, v21
	v_add_co_u32 v22, vcc_lo, v18, s6
	v_add_co_ci_u32_e32 v23, vcc_lo, s7, v19, vcc_lo
	v_lshlrev_b32_e32 v35, 4, v26
	buffer_store_dword v26, off, s[48:51], 0 offset:48 ; 4-byte Folded Spill
	v_mad_u64_u32 v[26:27], null, s9, v26, v[10:11]
	v_add_co_u32 v24, vcc_lo, v22, s0
	v_add_co_ci_u32_e32 v25, vcc_lo, s1, v23, vcc_lo
	global_load_dwordx4 v[219:222], v[92:93], off offset:1792
	v_add_co_u32 v28, vcc_lo, v24, s6
	v_add_co_ci_u32_e32 v29, vcc_lo, s7, v25, vcc_lo
	v_mov_b32_e32 v21, v26
	v_add_co_u32 v30, vcc_lo, v28, s0
	v_add_co_ci_u32_e32 v31, vcc_lo, s1, v29, vcc_lo
	s_clause 0x3
	global_load_dwordx4 v[215:218], v[2:3], off offset:576
	global_load_dwordx4 v[211:214], v[2:3], off offset:1408
	;; [unrolled: 1-line block ×4, first 2 shown]
	v_lshlrev_b64 v[6:7], 4, v[20:21]
	v_add_co_u32 v2, vcc_lo, v30, s6
	v_add_co_ci_u32_e32 v3, vcc_lo, s7, v31, vcc_lo
	buffer_store_dword v35, off, s[48:51], 0 offset:976 ; 4-byte Folded Spill
	v_add_co_u32 v6, vcc_lo, v13, v6
	v_add_co_ci_u32_e32 v7, vcc_lo, v34, v7, vcc_lo
	s_clause 0x7
	global_load_dwordx4 v[126:129], v35, s[12:13]
	global_load_dwordx4 v[179:182], v[11:12], off offset:64
	global_load_dwordx4 v[199:202], v[8:9], off offset:192
	;; [unrolled: 1-line block ×7, first 2 shown]
	s_clause 0x5
	global_load_dwordx4 v[56:59], v[6:7], off
	global_load_dwordx4 v[64:67], v[0:1], off
	;; [unrolled: 1-line block ×6, first 2 shown]
	v_mad_u64_u32 v[32:33], null, 0x340, s8, v[2:3]
	global_load_dwordx4 v[16:19], v[28:29], off
	global_load_dwordx4 v[4:7], v[30:31], off
	;; [unrolled: 1-line block ×4, first 2 shown]
	v_add_co_u32 v240, null, 0x68, v134
	v_mov_b32_e32 v8, v33
	v_add_co_u32 v12, vcc_lo, v32, s0
	v_add_co_u32 v239, null, 0x9c, v134
	v_mad_u64_u32 v[8:9], null, 0x340, s9, v[8:9]
	v_add_co_u32 v234, null, 0xd0, v134
	v_add_co_u32 v233, null, 0x104, v134
	;; [unrolled: 1-line block ×3, first 2 shown]
	v_mov_b32_e32 v33, v8
	v_add_co_u32 v231, null, 0x16c, v134
	v_add_co_u32 v238, null, 0x1a0, v134
	v_add_co_ci_u32_e32 v13, vcc_lo, s1, v33, vcc_lo
	v_add_co_u32 v14, vcc_lo, v12, s6
	global_load_dwordx4 v[8:11], v[32:33], off
	v_add_co_ci_u32_e32 v15, vcc_lo, s7, v13, vcc_lo
	v_add_co_u32 v28, vcc_lo, v14, s0
	global_load_dwordx4 v[20:23], v[12:13], off
	v_add_co_ci_u32_e32 v29, vcc_lo, s1, v15, vcc_lo
	v_add_co_u32 v30, vcc_lo, v28, s6
	global_load_dwordx4 v[12:15], v[14:15], off
	v_add_co_ci_u32_e32 v31, vcc_lo, s7, v29, vcc_lo
	v_add_co_u32 v32, vcc_lo, v30, s0
	v_add_co_u32 v237, null, 0x1d4, v134
	v_add_co_ci_u32_e32 v33, vcc_lo, s1, v31, vcc_lo
	v_add_co_u32 v34, vcc_lo, v32, s6
	v_add_co_u32 v236, null, 0x208, v134
	;; [unrolled: 3-line block ×3, first 2 shown]
	v_add_co_ci_u32_e32 v73, vcc_lo, s1, v35, vcc_lo
	v_add_co_u32 v78, vcc_lo, v72, s6
	global_load_dwordx4 v[68:71], v[28:29], off
	global_load_dwordx4 v[60:63], v[30:31], off
	;; [unrolled: 1-line block ×5, first 2 shown]
	v_add_co_ci_u32_e32 v79, vcc_lo, s7, v73, vcc_lo
	v_add_co_u32 v90, vcc_lo, 0x4000, v88
	v_add_co_ci_u32_e32 v91, vcc_lo, 0, v89, vcc_lo
	global_load_dwordx4 v[72:75], v[78:79], off
	v_add_co_u32 v78, vcc_lo, v78, s0
	v_add_co_ci_u32_e32 v79, vcc_lo, s1, v79, vcc_lo
	s_clause 0x1
	global_load_dwordx4 v[139:142], v[76:77], off offset:512
	global_load_dwordx4 v[135:138], v[76:77], off offset:1344
	v_add_co_u32 v80, vcc_lo, v78, s6
	v_add_co_ci_u32_e32 v81, vcc_lo, s7, v79, vcc_lo
	global_load_dwordx4 v[76:79], v[78:79], off
	v_add_co_u32 v94, vcc_lo, v80, s0
	v_add_co_ci_u32_e32 v95, vcc_lo, s1, v81, vcc_lo
	s_clause 0x1
	global_load_dwordx4 v[151:154], v[90:91], off offset:256
	global_load_dwordx4 v[147:150], v[90:91], off offset:1088
	global_load_dwordx4 v[80:83], v[80:81], off
	global_load_dwordx4 v[143:146], v[92:93], off offset:128
	global_load_dwordx4 v[84:87], v[94:95], off
	v_add_co_u32 v94, vcc_lo, v94, s6
	v_add_co_ci_u32_e32 v95, vcc_lo, s7, v95, vcc_lo
	v_add_co_u32 v96, vcc_lo, 0x4800, v88
	v_add_co_ci_u32_e32 v97, vcc_lo, 0, v89, vcc_lo
	;; [unrolled: 2-line block ×3, first 2 shown]
	global_load_dwordx4 v[159:162], v[90:91], off offset:1920
	global_load_dwordx4 v[88:91], v[94:95], off
	s_clause 0x1
	global_load_dwordx4 v[163:166], v[92:93], off offset:960
	global_load_dwordx4 v[167:170], v[96:97], off offset:704
	global_load_dwordx4 v[92:95], v[98:99], off
	s_load_dwordx4 s[8:11], s[2:3], 0x0
	v_and_b32_e32 v96, 1, v134
	v_lshlrev_b32_e32 v101, 5, v134
	v_lshlrev_b32_e32 v230, 5, v103
	;; [unrolled: 1-line block ×10, first 2 shown]
	s_load_dwordx2 s[2:3], s[4:5], 0x38
	v_cmp_gt_u16_e32 vcc_lo, 44, v102
	s_waitcnt vmcnt(30)
	v_mul_f64 v[97:98], v[66:67], v[209:210]
	v_mul_f64 v[106:107], v[58:59], v[128:129]
	s_waitcnt vmcnt(29)
	v_mul_f64 v[110:111], v[50:51], v[221:222]
	v_mul_f64 v[104:105], v[64:65], v[209:210]
	;; [unrolled: 1-line block ×4, first 2 shown]
	s_waitcnt vmcnt(28)
	v_mul_f64 v[114:115], v[46:47], v[193:194]
	s_waitcnt vmcnt(27)
	v_mul_f64 v[118:119], v[42:43], v[217:218]
	;; [unrolled: 2-line block ×3, first 2 shown]
	v_mul_f64 v[116:117], v[44:45], v[193:194]
	v_mul_f64 v[120:121], v[40:41], v[217:218]
	;; [unrolled: 1-line block ×3, first 2 shown]
	v_fma_f64 v[64:65], v[64:65], v[207:208], v[97:98]
	buffer_store_dword v207, off, s[48:51], 0 offset:372 ; 4-byte Folded Spill
	buffer_store_dword v208, off, s[48:51], 0 offset:376 ; 4-byte Folded Spill
	buffer_store_dword v209, off, s[48:51], 0 offset:380 ; 4-byte Folded Spill
	buffer_store_dword v210, off, s[48:51], 0 offset:384 ; 4-byte Folded Spill
	v_fma_f64 v[56:57], v[56:57], v[126:127], v[106:107]
	buffer_store_dword v126, off, s[48:51], 0 offset:292 ; 4-byte Folded Spill
	buffer_store_dword v127, off, s[48:51], 0 offset:296 ; 4-byte Folded Spill
	buffer_store_dword v128, off, s[48:51], 0 offset:300 ; 4-byte Folded Spill
	buffer_store_dword v129, off, s[48:51], 0 offset:304 ; 4-byte Folded Spill
	;; [unrolled: 5-line block ×3, first 2 shown]
	s_waitcnt vmcnt(23)
	v_mul_f64 v[97:98], v[26:27], v[213:214]
	v_mul_f64 v[106:107], v[18:19], v[205:206]
	;; [unrolled: 1-line block ×3, first 2 shown]
	v_fma_f64 v[44:45], v[44:45], v[191:192], v[114:115]
	buffer_store_dword v191, off, s[48:51], 0 offset:308 ; 4-byte Folded Spill
	buffer_store_dword v192, off, s[48:51], 0 offset:312 ; 4-byte Folded Spill
	buffer_store_dword v193, off, s[48:51], 0 offset:316 ; 4-byte Folded Spill
	buffer_store_dword v194, off, s[48:51], 0 offset:320 ; 4-byte Folded Spill
	v_fma_f64 v[40:41], v[40:41], v[215:216], v[118:119]
	buffer_store_dword v215, off, s[48:51], 0 offset:404 ; 4-byte Folded Spill
	buffer_store_dword v216, off, s[48:51], 0 offset:408 ; 4-byte Folded Spill
	buffer_store_dword v217, off, s[48:51], 0 offset:412 ; 4-byte Folded Spill
	buffer_store_dword v218, off, s[48:51], 0 offset:416 ; 4-byte Folded Spill
	;; [unrolled: 5-line block ×3, first 2 shown]
	s_waitcnt vmcnt(22)
	v_mul_f64 v[114:115], v[2:3], v[197:198]
	s_waitcnt vmcnt(21)
	v_mul_f64 v[118:119], v[10:11], v[181:182]
	;; [unrolled: 2-line block ×4, first 2 shown]
	v_fma_f64 v[66:67], v[66:67], v[207:208], -v[104:105]
	v_mul_f64 v[104:105], v[24:25], v[213:214]
	v_fma_f64 v[58:59], v[58:59], v[126:127], -v[108:109]
	v_mul_f64 v[108:109], v[16:17], v[205:206]
	;; [unrolled: 2-line block ×3, first 2 shown]
	v_fma_f64 v[24:25], v[24:25], v[211:212], v[97:98]
	buffer_store_dword v211, off, s[48:51], 0 offset:388 ; 4-byte Folded Spill
	buffer_store_dword v212, off, s[48:51], 0 offset:392 ; 4-byte Folded Spill
	buffer_store_dword v213, off, s[48:51], 0 offset:396 ; 4-byte Folded Spill
	buffer_store_dword v214, off, s[48:51], 0 offset:400 ; 4-byte Folded Spill
	v_fma_f64 v[16:17], v[16:17], v[203:204], v[106:107]
	buffer_store_dword v203, off, s[48:51], 0 offset:356 ; 4-byte Folded Spill
	buffer_store_dword v204, off, s[48:51], 0 offset:360 ; 4-byte Folded Spill
	buffer_store_dword v205, off, s[48:51], 0 offset:364 ; 4-byte Folded Spill
	buffer_store_dword v206, off, s[48:51], 0 offset:368 ; 4-byte Folded Spill
	;; [unrolled: 5-line block ×3, first 2 shown]
	v_mul_f64 v[126:127], v[22:23], v[185:186]
	s_waitcnt vmcnt(18)
	v_mul_f64 v[97:98], v[70:71], v[177:178]
	s_waitcnt vmcnt(17)
	;; [unrolled: 2-line block ×3, first 2 shown]
	v_mul_f64 v[110:111], v[54:55], v[132:133]
	v_fma_f64 v[46:47], v[46:47], v[191:192], -v[116:117]
	v_fma_f64 v[42:43], v[42:43], v[215:216], -v[120:121]
	v_mul_f64 v[116:117], v[0:1], v[197:198]
	v_mul_f64 v[120:121], v[8:9], v[181:182]
	v_fma_f64 v[38:39], v[38:39], v[187:188], -v[124:125]
	v_mul_f64 v[124:125], v[12:13], v[173:174]
	v_fma_f64 v[0:1], v[0:1], v[195:196], v[114:115]
	buffer_store_dword v195, off, s[48:51], 0 offset:324 ; 4-byte Folded Spill
	buffer_store_dword v196, off, s[48:51], 0 offset:328 ; 4-byte Folded Spill
	;; [unrolled: 1-line block ×4, first 2 shown]
	v_fma_f64 v[8:9], v[8:9], v[179:180], v[118:119]
	buffer_store_dword v179, off, s[48:51], 0 offset:244 ; 4-byte Folded Spill
	buffer_store_dword v180, off, s[48:51], 0 offset:248 ; 4-byte Folded Spill
	;; [unrolled: 1-line block ×4, first 2 shown]
	v_fma_f64 v[12:13], v[12:13], v[171:172], v[122:123]
	s_waitcnt vmcnt(12)
	v_mul_f64 v[114:115], v[30:31], v[141:142]
	s_waitcnt vmcnt(9)
	v_mul_f64 v[118:119], v[34:35], v[153:154]
	;; [unrolled: 2-line block ×3, first 2 shown]
	v_fma_f64 v[20:21], v[20:21], v[183:184], v[126:127]
	buffer_store_dword v183, off, s[48:51], 0 offset:260 ; 4-byte Folded Spill
	buffer_store_dword v184, off, s[48:51], 0 offset:264 ; 4-byte Folded Spill
	;; [unrolled: 1-line block ×8, first 2 shown]
	s_waitcnt vmcnt(2)
	v_mul_f64 v[126:127], v[90:91], v[165:166]
	v_fma_f64 v[26:27], v[26:27], v[211:212], -v[104:105]
	v_mul_f64 v[104:105], v[68:69], v[177:178]
	v_fma_f64 v[18:19], v[18:19], v[203:204], -v[108:109]
	;; [unrolled: 2-line block ×3, first 2 shown]
	v_mul_f64 v[112:113], v[52:53], v[132:133]
	v_fma_f64 v[68:69], v[68:69], v[175:176], v[97:98]
	buffer_store_dword v175, off, s[48:51], 0 offset:228 ; 4-byte Folded Spill
	buffer_store_dword v176, off, s[48:51], 0 offset:232 ; 4-byte Folded Spill
	buffer_store_dword v177, off, s[48:51], 0 offset:236 ; 4-byte Folded Spill
	buffer_store_dword v178, off, s[48:51], 0 offset:240 ; 4-byte Folded Spill
	v_fma_f64 v[60:61], v[60:61], v[155:156], v[106:107]
	buffer_store_dword v155, off, s[48:51], 0 offset:148 ; 4-byte Folded Spill
	buffer_store_dword v156, off, s[48:51], 0 offset:152 ; 4-byte Folded Spill
	buffer_store_dword v157, off, s[48:51], 0 offset:156 ; 4-byte Folded Spill
	buffer_store_dword v158, off, s[48:51], 0 offset:160 ; 4-byte Folded Spill
	v_fma_f64 v[52:53], v[52:53], v[130:131], v[110:111]
	buffer_store_dword v130, off, s[48:51], 0 offset:116 ; 4-byte Folded Spill
	buffer_store_dword v131, off, s[48:51], 0 offset:120 ; 4-byte Folded Spill
	buffer_store_dword v132, off, s[48:51], 0 offset:124 ; 4-byte Folded Spill
	buffer_store_dword v133, off, s[48:51], 0 offset:128 ; 4-byte Folded Spill
	v_mul_f64 v[97:98], v[74:75], v[137:138]
	v_mul_f64 v[106:107], v[78:79], v[149:150]
	;; [unrolled: 1-line block ×3, first 2 shown]
	ds_write_b128 v100, v[64:67]
	v_fma_f64 v[2:3], v[2:3], v[195:196], -v[116:117]
	v_mul_f64 v[116:117], v[28:29], v[141:142]
	ds_write_b128 v100, v[56:59] offset:13312
	v_fma_f64 v[28:29], v[28:29], v[139:140], v[114:115]
	buffer_store_dword v139, off, s[48:51], 0 offset:68 ; 4-byte Folded Spill
	buffer_store_dword v140, off, s[48:51], 0 offset:72 ; 4-byte Folded Spill
	;; [unrolled: 1-line block ×4, first 2 shown]
	v_fma_f64 v[10:11], v[10:11], v[179:180], -v[120:121]
	v_mul_f64 v[120:121], v[32:33], v[153:154]
	v_fma_f64 v[32:33], v[32:33], v[151:152], v[118:119]
	buffer_store_dword v151, off, s[48:51], 0 offset:132 ; 4-byte Folded Spill
	buffer_store_dword v152, off, s[48:51], 0 offset:136 ; 4-byte Folded Spill
	;; [unrolled: 1-line block ×4, first 2 shown]
	s_waitcnt vmcnt(0)
	v_mul_f64 v[132:133], v[92:93], v[169:170]
	v_lshlrev_b32_e32 v157, 5, v237
	v_fma_f64 v[22:23], v[22:23], v[183:184], -v[128:129]
	v_fma_f64 v[14:15], v[14:15], v[171:172], -v[124:125]
	v_mul_f64 v[124:125], v[84:85], v[161:162]
	v_mul_f64 v[128:129], v[88:89], v[165:166]
	v_fma_f64 v[56:57], v[72:73], v[135:136], v[97:98]
	v_fma_f64 v[64:65], v[76:77], v[147:148], v[106:107]
	v_fma_f64 v[70:71], v[70:71], v[175:176], -v[104:105]
	v_mul_f64 v[104:105], v[72:73], v[137:138]
	buffer_store_dword v135, off, s[48:51], 0 offset:52 ; 4-byte Folded Spill
	buffer_store_dword v136, off, s[48:51], 0 offset:56 ; 4-byte Folded Spill
	;; [unrolled: 1-line block ×4, first 2 shown]
	v_fma_f64 v[62:63], v[62:63], v[155:156], -v[108:109]
	v_fma_f64 v[54:55], v[54:55], v[130:131], -v[112:113]
	v_mul_f64 v[130:131], v[94:95], v[169:170]
	v_mul_f64 v[108:109], v[76:77], v[149:150]
	buffer_store_dword v147, off, s[48:51], 0 offset:100 ; 4-byte Folded Spill
	buffer_store_dword v148, off, s[48:51], 0 offset:104 ; 4-byte Folded Spill
	;; [unrolled: 1-line block ×4, first 2 shown]
	v_mul_f64 v[112:113], v[80:81], v[145:146]
	v_fma_f64 v[72:73], v[80:81], v[143:144], v[110:111]
	buffer_store_dword v143, off, s[48:51], 0 offset:84 ; 4-byte Folded Spill
	buffer_store_dword v144, off, s[48:51], 0 offset:88 ; 4-byte Folded Spill
	buffer_store_dword v145, off, s[48:51], 0 offset:92 ; 4-byte Folded Spill
	buffer_store_dword v146, off, s[48:51], 0 offset:96 ; 4-byte Folded Spill
	v_fma_f64 v[76:77], v[84:85], v[159:160], v[122:123]
	buffer_store_dword v159, off, s[48:51], 0 offset:164 ; 4-byte Folded Spill
	buffer_store_dword v160, off, s[48:51], 0 offset:168 ; 4-byte Folded Spill
	buffer_store_dword v161, off, s[48:51], 0 offset:172 ; 4-byte Folded Spill
	buffer_store_dword v162, off, s[48:51], 0 offset:176 ; 4-byte Folded Spill
	;; [unrolled: 5-line block ×3, first 2 shown]
	v_fma_f64 v[30:31], v[30:31], v[139:140], -v[116:117]
	v_lshlrev_b32_e32 v156, 5, v236
	v_fma_f64 v[34:35], v[34:35], v[151:152], -v[120:121]
	v_lshlrev_b32_e32 v155, 5, v235
	v_fma_f64 v[84:85], v[92:93], v[167:168], v[130:131]
	buffer_store_dword v167, off, s[48:51], 0 offset:196 ; 4-byte Folded Spill
	buffer_store_dword v168, off, s[48:51], 0 offset:200 ; 4-byte Folded Spill
	;; [unrolled: 1-line block ×4, first 2 shown]
	v_fma_f64 v[58:59], v[74:75], v[135:136], -v[104:105]
	v_fma_f64 v[66:67], v[78:79], v[147:148], -v[108:109]
                                        ; implicit-def: $vgpr148_vgpr149
	v_fma_f64 v[74:75], v[82:83], v[143:144], -v[112:113]
                                        ; implicit-def: $vgpr144_vgpr145
	v_fma_f64 v[78:79], v[86:87], v[159:160], -v[124:125]
	v_fma_f64 v[82:83], v[90:91], v[163:164], -v[128:129]
	v_fma_f64 v[86:87], v[94:95], v[167:168], -v[132:133]
	ds_write_b128 v100, v[48:51] offset:9984
	ds_write_b128 v100, v[44:47] offset:832
	;; [unrolled: 1-line block ×22, first 2 shown]
	s_waitcnt lgkmcnt(0)
	s_waitcnt_vscnt null, 0x0
	s_barrier
	buffer_gl0_inv
	ds_read_b128 v[0:3], v100
	ds_read_b128 v[4:7], v100 offset:832
	ds_read_b128 v[8:11], v100 offset:9984
	;; [unrolled: 1-line block ×23, first 2 shown]
	s_waitcnt lgkmcnt(21)
	v_add_f64 v[8:9], v[0:1], -v[8:9]
	v_add_f64 v[10:11], v[2:3], -v[10:11]
	s_waitcnt lgkmcnt(20)
	v_add_f64 v[12:13], v[4:5], -v[12:13]
	v_add_f64 v[14:15], v[6:7], -v[14:15]
	;; [unrolled: 3-line block ×12, first 2 shown]
	v_fma_f64 v[0:1], v[0:1], 2.0, -v[8:9]
	v_fma_f64 v[2:3], v[2:3], 2.0, -v[10:11]
	;; [unrolled: 1-line block ×24, first 2 shown]
	s_barrier
	buffer_gl0_inv
	ds_write_b128 v101, v[8:11] offset:16
	buffer_store_dword v101, off, s[48:51], 0 offset:924 ; 4-byte Folded Spill
	ds_write_b128 v101, v[0:3]
	ds_write_b128 v230, v[4:7]
	buffer_store_dword v230, off, s[48:51], 0 offset:1032 ; 4-byte Folded Spill
	ds_write_b128 v230, v[12:15] offset:16
	ds_write_b128 v229, v[16:19]
	buffer_store_dword v229, off, s[48:51], 0 offset:1028 ; 4-byte Folded Spill
	ds_write_b128 v229, v[24:27] offset:16
	;; [unrolled: 3-line block ×11, first 2 shown]
	s_waitcnt lgkmcnt(0)
	s_waitcnt_vscnt null, 0x0
	s_barrier
	buffer_gl0_inv
	global_load_dwordx4 v[60:63], v99, s[14:15]
	v_lshlrev_b32_e32 v7, 1, v134
	v_lshlrev_b32_e32 v0, 1, v103
	;; [unrolled: 1-line block ×8, first 2 shown]
	buffer_store_dword v7, off, s[48:51], 0 offset:468 ; 4-byte Folded Spill
	v_and_or_b32 v7, 0x7c, v7, v96
	v_lshlrev_b32_e32 v8, 1, v238
	v_lshlrev_b32_e32 v9, 1, v237
	;; [unrolled: 1-line block ×4, first 2 shown]
	v_and_or_b32 v0, 0xfc, v0, v96
	v_and_or_b32 v1, 0x1fc, v1, v96
	;; [unrolled: 1-line block ×4, first 2 shown]
	v_lshlrev_b32_e32 v136, 4, v7
	v_and_or_b32 v4, 0x2fc, v4, v96
	v_and_or_b32 v5, 0x2fc, v5, v96
	;; [unrolled: 1-line block ×7, first 2 shown]
	buffer_store_dword v134, off, s[48:51], 0 ; 4-byte Folded Spill
	buffer_store_dword v103, off, s[48:51], 0 offset:492 ; 4-byte Folded Spill
	buffer_store_dword v240, off, s[48:51], 0 offset:476 ; 4-byte Folded Spill
	;; [unrolled: 1-line block ×11, first 2 shown]
	v_lshlrev_b32_e32 v142, 4, v0
	v_lshlrev_b32_e32 v141, 4, v1
	;; [unrolled: 1-line block ×4, first 2 shown]
	ds_read_b128 v[0:3], v100 offset:9984
	v_lshlrev_b32_e32 v138, 4, v4
	v_lshlrev_b32_e32 v137, 4, v5
	;; [unrolled: 1-line block ×4, first 2 shown]
	ds_read_b128 v[4:7], v100 offset:10816
	v_lshlrev_b32_e32 v133, 4, v8
	v_lshlrev_b32_e32 v132, 4, v9
	;; [unrolled: 1-line block ×3, first 2 shown]
	ds_read_b128 v[8:11], v100 offset:11648
	ds_read_b128 v[12:15], v100 offset:12480
	ds_read_b128 v[16:19], v100
	ds_read_b128 v[28:31], v100 offset:832
	ds_read_b128 v[20:23], v100 offset:13312
	;; [unrolled: 1-line block ×13, first 2 shown]
	s_waitcnt vmcnt(0) lgkmcnt(17)
	v_mul_f64 v[76:77], v[2:3], v[62:63]
	v_mul_f64 v[78:79], v[0:1], v[62:63]
	s_waitcnt lgkmcnt(16)
	v_mul_f64 v[80:81], v[6:7], v[62:63]
	v_mul_f64 v[82:83], v[4:5], v[62:63]
	s_waitcnt lgkmcnt(15)
	;; [unrolled: 3-line block ×11, first 2 shown]
	v_mul_f64 v[128:129], v[74:75], v[62:63]
	v_mul_f64 v[130:131], v[72:73], v[62:63]
	v_fma_f64 v[0:1], v[0:1], v[60:61], -v[76:77]
	v_fma_f64 v[2:3], v[2:3], v[60:61], v[78:79]
	v_fma_f64 v[120:121], v[4:5], v[60:61], -v[80:81]
	v_fma_f64 v[122:123], v[6:7], v[60:61], v[82:83]
	v_fma_f64 v[8:9], v[8:9], v[60:61], -v[84:85]
	v_fma_f64 v[10:11], v[10:11], v[60:61], v[86:87]
	v_fma_f64 v[12:13], v[12:13], v[60:61], -v[88:89]
	v_fma_f64 v[14:15], v[14:15], v[60:61], v[90:91]
	v_fma_f64 v[20:21], v[20:21], v[60:61], -v[92:93]
	v_fma_f64 v[22:23], v[22:23], v[60:61], v[94:95]
	v_fma_f64 v[24:25], v[24:25], v[60:61], -v[96:97]
	v_fma_f64 v[26:27], v[26:27], v[60:61], v[98:99]
	v_fma_f64 v[32:33], v[32:33], v[60:61], -v[104:105]
	v_fma_f64 v[34:35], v[34:35], v[60:61], v[106:107]
	v_fma_f64 v[104:105], v[44:45], v[60:61], -v[108:109]
	v_fma_f64 v[106:107], v[46:47], v[60:61], v[110:111]
	v_fma_f64 v[108:109], v[48:49], v[60:61], -v[112:113]
	v_fma_f64 v[110:111], v[50:51], v[60:61], v[114:115]
	v_fma_f64 v[112:113], v[64:65], v[60:61], -v[116:117]
	v_fma_f64 v[114:115], v[66:67], v[60:61], v[118:119]
	v_fma_f64 v[116:117], v[68:69], v[60:61], -v[124:125]
	v_fma_f64 v[118:119], v[70:71], v[60:61], v[126:127]
	v_fma_f64 v[124:125], v[72:73], v[60:61], -v[128:129]
	v_fma_f64 v[126:127], v[74:75], v[60:61], v[130:131]
	ds_read_b128 v[4:7], v100 offset:4992
	ds_read_b128 v[76:79], v100 offset:5824
	;; [unrolled: 1-line block ×6, first 2 shown]
	v_add_f64 v[64:65], v[16:17], -v[0:1]
	v_add_f64 v[66:67], v[18:19], -v[2:3]
	;; [unrolled: 1-line block ×12, first 2 shown]
	s_waitcnt lgkmcnt(0)
	s_waitcnt_vscnt null, 0x0
	s_barrier
	buffer_gl0_inv
	buffer_store_dword v136, off, s[48:51], 0 offset:960 ; 4-byte Folded Spill
	v_add_f64 v[0:1], v[4:5], -v[32:33]
	v_add_f64 v[2:3], v[6:7], -v[34:35]
	;; [unrolled: 1-line block ×12, first 2 shown]
	v_fma_f64 v[104:105], v[16:17], 2.0, -v[64:65]
	v_fma_f64 v[106:107], v[18:19], 2.0, -v[66:67]
	;; [unrolled: 1-line block ×24, first 2 shown]
	ds_write_b128 v136, v[64:67] offset:32
	ds_write_b128 v136, v[104:107]
	ds_write_b128 v142, v[108:111]
	buffer_store_dword v142, off, s[48:51], 0 offset:988 ; 4-byte Folded Spill
	ds_write_b128 v142, v[68:71] offset:32
	ds_write_b128 v141, v[112:115]
	buffer_store_dword v141, off, s[48:51], 0 offset:984 ; 4-byte Folded Spill
	ds_write_b128 v141, v[72:75] offset:32
	;; [unrolled: 3-line block ×11, first 2 shown]
	s_waitcnt lgkmcnt(0)
	s_waitcnt_vscnt null, 0x0
	s_barrier
	buffer_gl0_inv
	ds_read_b128 v[4:7], v100
	ds_read_b128 v[96:99], v100 offset:1536
	ds_read_b128 v[88:91], v100 offset:3072
	;; [unrolled: 1-line block ×12, first 2 shown]
	s_and_saveexec_b32 s0, vcc_lo
	s_cbranch_execz .LBB0_3
; %bb.2:
	ds_read_b128 v[0:3], v100 offset:832
	ds_read_b128 v[16:19], v100 offset:2368
	ds_read_b128 v[8:11], v100 offset:3904
	ds_read_b128 v[28:31], v100 offset:5440
	ds_read_b128 v[12:15], v100 offset:6976
	ds_read_b128 v[40:43], v100 offset:8512
	ds_read_b128 v[24:27], v100 offset:10048
	ds_read_b128 v[36:39], v100 offset:11584
	ds_read_b128 v[20:23], v100 offset:13120
	ds_read_b128 v[44:47], v100 offset:14656
	ds_read_b128 v[32:35], v100 offset:16192
	ds_read_b128 v[144:147], v100 offset:17728
	ds_read_b128 v[148:151], v100 offset:19264
.LBB0_3:
	s_or_b32 exec_lo, exec_lo, s0
	buffer_load_dword v101, off, s[48:51], 0 ; 4-byte Folded Reload
	s_mov_b32 s30, 0x4267c47c
	s_mov_b32 s6, 0x42a4c3d2
	;; [unrolled: 1-line block ×36, first 2 shown]
	s_waitcnt vmcnt(0)
	v_and_b32_e32 v102, 3, v101
	buffer_store_dword v102, off, s[48:51], 0 offset:4 ; 4-byte Folded Spill
	v_mul_u32_u24_e32 v102, 12, v102
	v_lshlrev_b32_e32 v102, 4, v102
	s_clause 0x3
	global_load_dwordx4 v[104:107], v102, s[14:15] offset:32
	global_load_dwordx4 v[140:143], v102, s[14:15] offset:208
	;; [unrolled: 1-line block ×4, first 2 shown]
	s_waitcnt vmcnt(3) lgkmcnt(11)
	v_mul_f64 v[112:113], v[96:97], v[106:107]
	v_mul_f64 v[114:115], v[98:99], v[106:107]
	v_fma_f64 v[188:189], v[98:99], v[104:105], v[112:113]
	v_fma_f64 v[190:191], v[96:97], v[104:105], -v[114:115]
	s_clause 0x5
	global_load_dwordx4 v[192:195], v102, s[14:15] offset:64
	global_load_dwordx4 v[112:115], v102, s[14:15] offset:80
	global_load_dwordx4 v[124:127], v102, s[14:15] offset:96
	global_load_dwordx4 v[128:131], v102, s[14:15] offset:112
	global_load_dwordx4 v[136:139], v102, s[14:15] offset:128
	global_load_dwordx4 v[132:135], v102, s[14:15] offset:144
	s_waitcnt vmcnt(8) lgkmcnt(0)
	v_mul_f64 v[96:97], v[92:93], v[142:143]
	v_add_f64 v[242:243], v[6:7], v[188:189]
	v_add_f64 v[240:241], v[4:5], v[190:191]
	v_fma_f64 v[152:153], v[94:95], v[140:141], v[96:97]
	v_mul_f64 v[94:95], v[94:95], v[142:143]
	s_clause 0x1
	global_load_dwordx4 v[120:123], v102, s[14:15] offset:160
	global_load_dwordx4 v[96:99], v102, s[14:15] offset:176
	v_fma_f64 v[92:93], v[92:93], v[140:141], -v[94:95]
	s_waitcnt vmcnt(9)
	v_mul_f64 v[94:95], v[90:91], v[110:111]
	v_fma_f64 v[94:95], v[88:89], v[108:109], -v[94:95]
	v_mul_f64 v[88:89], v[88:89], v[110:111]
	v_fma_f64 v[88:89], v[90:91], v[108:109], v[88:89]
	s_waitcnt vmcnt(7)
	v_mul_f64 v[90:91], v[86:87], v[194:195]
	v_fma_f64 v[90:91], v[84:85], v[192:193], -v[90:91]
	v_mul_f64 v[84:85], v[84:85], v[194:195]
	v_fma_f64 v[154:155], v[86:87], v[192:193], v[84:85]
	s_waitcnt vmcnt(6)
	v_mul_f64 v[84:85], v[82:83], v[114:115]
	v_fma_f64 v[156:157], v[80:81], v[112:113], -v[84:85]
	v_mul_f64 v[80:81], v[80:81], v[114:115]
	v_fma_f64 v[158:159], v[82:83], v[112:113], v[80:81]
	s_waitcnt vmcnt(5)
	v_mul_f64 v[80:81], v[78:79], v[126:127]
	v_fma_f64 v[160:161], v[76:77], v[124:125], -v[80:81]
	v_mul_f64 v[76:77], v[76:77], v[126:127]
	v_fma_f64 v[162:163], v[78:79], v[124:125], v[76:77]
	s_waitcnt vmcnt(4)
	v_mul_f64 v[76:77], v[74:75], v[130:131]
	v_fma_f64 v[164:165], v[72:73], v[128:129], -v[76:77]
	v_mul_f64 v[72:73], v[72:73], v[130:131]
	v_fma_f64 v[166:167], v[74:75], v[128:129], v[72:73]
	s_waitcnt vmcnt(3)
	v_mul_f64 v[72:73], v[70:71], v[138:139]
	v_fma_f64 v[168:169], v[68:69], v[136:137], -v[72:73]
	v_mul_f64 v[68:69], v[68:69], v[138:139]
	v_add_f64 v[204:205], v[164:165], v[168:169]
	v_fma_f64 v[172:173], v[70:71], v[136:137], v[68:69]
	s_waitcnt vmcnt(2)
	v_mul_f64 v[68:69], v[66:67], v[134:135]
	v_add_f64 v[230:231], v[164:165], -v[168:169]
	v_add_f64 v[228:229], v[166:167], -v[172:173]
	v_fma_f64 v[174:175], v[64:65], v[132:133], -v[68:69]
	v_mul_f64 v[64:65], v[64:65], v[134:135]
	v_add_f64 v[216:217], v[166:167], v[172:173]
	v_add_f64 v[196:197], v[160:161], v[174:175]
	v_fma_f64 v[176:177], v[66:67], v[132:133], v[64:65]
	v_mul_f64 v[64:65], v[56:57], v[118:119]
	v_add_f64 v[226:227], v[160:161], -v[174:175]
	v_add_f64 v[224:225], v[162:163], -v[176:177]
	v_fma_f64 v[170:171], v[58:59], v[116:117], v[64:65]
	v_mul_f64 v[58:59], v[58:59], v[118:119]
	v_add_f64 v[198:199], v[162:163], v[176:177]
	v_add_f64 v[206:207], v[88:89], -v[170:171]
	v_fma_f64 v[178:179], v[56:57], v[116:117], -v[58:59]
	s_waitcnt vmcnt(1)
	v_mul_f64 v[56:57], v[54:55], v[122:123]
	v_add_f64 v[208:209], v[94:95], -v[178:179]
	v_fma_f64 v[180:181], v[52:53], v[120:121], -v[56:57]
	v_mul_f64 v[52:53], v[52:53], v[122:123]
	v_add_f64 v[218:219], v[156:157], -v[180:181]
	v_fma_f64 v[182:183], v[54:55], v[120:121], v[52:53]
	s_waitcnt vmcnt(0)
	v_mul_f64 v[52:53], v[50:51], v[98:99]
	v_add_f64 v[214:215], v[158:159], -v[182:183]
	v_fma_f64 v[184:185], v[48:49], v[96:97], -v[52:53]
	v_mul_f64 v[48:49], v[48:49], v[98:99]
	v_add_f64 v[212:213], v[90:91], -v[184:185]
	v_fma_f64 v[186:187], v[50:51], v[96:97], v[48:49]
	v_mul_f64 v[48:49], v[18:19], v[106:107]
	v_add_f64 v[210:211], v[154:155], -v[186:187]
	v_fma_f64 v[248:249], v[16:17], v[104:105], -v[48:49]
	v_mul_f64 v[16:17], v[16:17], v[106:107]
	v_fma_f64 v[252:253], v[18:19], v[104:105], v[16:17]
	v_mul_f64 v[16:17], v[10:11], v[110:111]
	v_fma_f64 v[84:85], v[8:9], v[108:109], -v[16:17]
	v_mul_f64 v[8:9], v[8:9], v[110:111]
	v_fma_f64 v[102:103], v[10:11], v[108:109], v[8:9]
	v_mul_f64 v[8:9], v[30:31], v[194:195]
	v_fma_f64 v[80:81], v[28:29], v[192:193], -v[8:9]
	v_mul_f64 v[8:9], v[28:29], v[194:195]
	buffer_store_dword v192, off, s[48:51], 0 offset:436 ; 4-byte Folded Spill
	buffer_store_dword v193, off, s[48:51], 0 offset:440 ; 4-byte Folded Spill
	buffer_store_dword v194, off, s[48:51], 0 offset:444 ; 4-byte Folded Spill
	buffer_store_dword v195, off, s[48:51], 0 offset:448 ; 4-byte Folded Spill
	v_add_f64 v[194:195], v[158:159], v[182:183]
	v_fma_f64 v[86:87], v[30:31], v[192:193], v[8:9]
	v_mul_f64 v[8:9], v[14:15], v[114:115]
	v_add_f64 v[192:193], v[156:157], v[180:181]
	v_fma_f64 v[78:79], v[12:13], v[112:113], -v[8:9]
	v_mul_f64 v[8:9], v[12:13], v[114:115]
	v_fma_f64 v[82:83], v[14:15], v[112:113], v[8:9]
	v_mul_f64 v[8:9], v[42:43], v[126:127]
	v_fma_f64 v[8:9], v[40:41], v[124:125], -v[8:9]
	buffer_store_dword v8, off, s[48:51], 0 offset:556 ; 4-byte Folded Spill
	buffer_store_dword v9, off, s[48:51], 0 offset:560 ; 4-byte Folded Spill
	v_mul_f64 v[8:9], v[40:41], v[126:127]
	v_fma_f64 v[76:77], v[42:43], v[124:125], v[8:9]
	v_mul_f64 v[8:9], v[26:27], v[130:131]
	v_fma_f64 v[8:9], v[24:25], v[128:129], -v[8:9]
	buffer_store_dword v8, off, s[48:51], 0 offset:572 ; 4-byte Folded Spill
	buffer_store_dword v9, off, s[48:51], 0 offset:576 ; 4-byte Folded Spill
	v_mul_f64 v[8:9], v[24:25], v[130:131]
	v_fma_f64 v[8:9], v[26:27], v[128:129], v[8:9]
	buffer_store_dword v8, off, s[48:51], 0 offset:508 ; 4-byte Folded Spill
	buffer_store_dword v9, off, s[48:51], 0 offset:512 ; 4-byte Folded Spill
	v_mul_f64 v[8:9], v[38:39], v[138:139]
	v_fma_f64 v[8:9], v[36:37], v[136:137], -v[8:9]
	buffer_store_dword v8, off, s[48:51], 0 offset:524 ; 4-byte Folded Spill
	buffer_store_dword v9, off, s[48:51], 0 offset:528 ; 4-byte Folded Spill
	v_mul_f64 v[8:9], v[36:37], v[138:139]
	v_fma_f64 v[8:9], v[38:39], v[136:137], v[8:9]
	buffer_store_dword v8, off, s[48:51], 0 offset:540 ; 4-byte Folded Spill
	buffer_store_dword v9, off, s[48:51], 0 offset:544 ; 4-byte Folded Spill
	v_mul_f64 v[8:9], v[22:23], v[134:135]
	v_fma_f64 v[72:73], v[20:21], v[132:133], -v[8:9]
	v_mul_f64 v[8:9], v[20:21], v[134:135]
	v_add_f64 v[20:21], v[190:191], v[92:93]
	v_fma_f64 v[74:75], v[22:23], v[132:133], v[8:9]
	v_mul_f64 v[8:9], v[46:47], v[122:123]
	v_fma_f64 v[68:69], v[44:45], v[120:121], -v[8:9]
	v_mul_f64 v[8:9], v[44:45], v[122:123]
	v_add_f64 v[44:45], v[188:189], v[152:153]
	v_fma_f64 v[70:71], v[46:47], v[120:121], v[8:9]
	v_mul_f64 v[8:9], v[34:35], v[98:99]
	v_fma_f64 v[64:65], v[32:33], v[96:97], -v[8:9]
	v_mul_f64 v[8:9], v[32:33], v[98:99]
	v_fma_f64 v[66:67], v[34:35], v[96:97], v[8:9]
	v_mul_f64 v[8:9], v[146:147], v[118:119]
	v_fma_f64 v[56:57], v[144:145], v[116:117], -v[8:9]
	v_mul_f64 v[8:9], v[144:145], v[118:119]
	v_fma_f64 v[58:59], v[146:147], v[116:117], v[8:9]
	v_mul_f64 v[8:9], v[150:151], v[142:143]
	v_fma_f64 v[52:53], v[148:149], v[140:141], -v[8:9]
	v_mul_f64 v[8:9], v[148:149], v[142:143]
	v_fma_f64 v[54:55], v[150:151], v[140:141], v[8:9]
	v_add_f64 v[8:9], v[188:189], -v[152:153]
	v_add_f64 v[150:151], v[88:89], v[170:171]
	v_add_f64 v[188:189], v[90:91], v[184:185]
	v_add_f64 v[246:247], v[252:253], -v[54:55]
	v_mul_f64 v[10:11], v[8:9], s[30:31]
	v_mul_f64 v[12:13], v[8:9], s[6:7]
	;; [unrolled: 1-line block ×7, first 2 shown]
	v_fma_f64 v[22:23], v[20:21], s[26:27], -v[10:11]
	v_fma_f64 v[10:11], v[20:21], s[26:27], v[10:11]
	v_fma_f64 v[24:25], v[20:21], s[0:1], -v[12:13]
	v_fma_f64 v[12:13], v[20:21], s[0:1], v[12:13]
	;; [unrolled: 2-line block ×6, first 2 shown]
	v_add_f64 v[20:21], v[190:191], -v[92:93]
	v_add_f64 v[190:191], v[154:155], v[186:187]
	v_add_f64 v[22:23], v[4:5], v[22:23]
	v_add_f64 v[24:25], v[4:5], v[24:25]
	v_add_f64 v[12:13], v[4:5], v[12:13]
	v_add_f64 v[26:27], v[4:5], v[26:27]
	v_add_f64 v[232:233], v[4:5], v[14:15]
	v_add_f64 v[28:29], v[4:5], v[28:29]
	v_add_f64 v[236:237], v[4:5], v[16:17]
	v_add_f64 v[238:239], v[4:5], v[30:31]
	v_add_f64 v[222:223], v[4:5], v[18:19]
	v_add_f64 v[202:203], v[4:5], v[32:33]
	v_mul_f64 v[14:15], v[208:209], s[6:7]
	v_mul_f64 v[34:35], v[20:21], s[30:31]
	;; [unrolled: 1-line block ×11, first 2 shown]
	v_fma_f64 v[46:47], v[44:45], s[26:27], v[34:35]
	v_fma_f64 v[34:35], v[44:45], s[26:27], -v[34:35]
	v_fma_f64 v[48:49], v[44:45], s[0:1], v[36:37]
	v_fma_f64 v[144:145], v[44:45], s[20:21], v[40:41]
	v_fma_f64 v[36:37], v[44:45], s[0:1], -v[36:37]
	v_fma_f64 v[148:149], v[44:45], s[24:25], v[20:21]
	v_fma_f64 v[50:51], v[44:45], s[22:23], v[38:39]
	v_fma_f64 v[38:39], v[44:45], s[22:23], -v[38:39]
	v_fma_f64 v[40:41], v[44:45], s[20:21], -v[40:41]
	v_fma_f64 v[146:147], v[44:45], s[4:5], v[42:43]
	v_fma_f64 v[42:43], v[44:45], s[4:5], -v[42:43]
	v_fma_f64 v[20:21], v[44:45], s[24:25], -v[20:21]
	v_add_f64 v[44:45], v[6:7], v[46:47]
	v_add_f64 v[46:47], v[4:5], v[10:11]
	v_add_f64 v[34:35], v[6:7], v[34:35]
	v_add_f64 v[234:235], v[6:7], v[144:145]
	v_add_f64 v[144:145], v[4:5], v[8:9]
	v_add_f64 v[200:201], v[6:7], v[148:149]
	v_add_f64 v[148:149], v[94:95], v[178:179]
	v_mul_f64 v[4:5], v[206:207], s[6:7]
	v_add_f64 v[48:49], v[6:7], v[48:49]
	v_add_f64 v[36:37], v[6:7], v[36:37]
	;; [unrolled: 1-line block ×8, first 2 shown]
	v_fma_f64 v[8:9], v[150:151], s[0:1], v[14:15]
	v_fma_f64 v[10:11], v[188:189], s[22:23], -v[16:17]
	v_mul_f64 v[20:21], v[214:215], s[18:19]
	v_fma_f64 v[14:15], v[150:151], s[0:1], -v[14:15]
	v_fma_f64 v[16:17], v[188:189], s[22:23], v[16:17]
	v_mul_f64 v[42:43], v[228:229], s[34:35]
	v_fma_f64 v[6:7], v[148:149], s[0:1], -v[4:5]
	v_fma_f64 v[4:5], v[148:149], s[0:1], v[4:5]
	v_add_f64 v[8:9], v[8:9], v[44:45]
	v_add_f64 v[14:15], v[14:15], v[34:35]
	;; [unrolled: 1-line block ×3, first 2 shown]
	v_mul_f64 v[22:23], v[218:219], s[18:19]
	v_add_f64 v[4:5], v[4:5], v[46:47]
	v_add_f64 v[6:7], v[10:11], v[6:7]
	v_fma_f64 v[10:11], v[190:191], s[22:23], v[18:19]
	v_add_f64 v[4:5], v[16:17], v[4:5]
	v_fma_f64 v[16:17], v[190:191], s[22:23], -v[18:19]
	v_add_f64 v[8:9], v[10:11], v[8:9]
	v_fma_f64 v[10:11], v[192:193], s[20:21], -v[20:21]
	v_add_f64 v[14:15], v[16:17], v[14:15]
	v_fma_f64 v[16:17], v[192:193], s[20:21], v[20:21]
	v_mul_f64 v[20:21], v[208:209], s[18:19]
	v_add_f64 v[6:7], v[10:11], v[6:7]
	v_fma_f64 v[10:11], v[194:195], s[20:21], v[22:23]
	v_add_f64 v[4:5], v[16:17], v[4:5]
	v_fma_f64 v[16:17], v[194:195], s[20:21], -v[22:23]
	v_mul_f64 v[22:23], v[210:211], s[34:35]
	v_fma_f64 v[18:19], v[150:151], s[20:21], v[20:21]
	v_add_f64 v[8:9], v[10:11], v[8:9]
	v_fma_f64 v[10:11], v[196:197], s[4:5], -v[30:31]
	v_add_f64 v[14:15], v[16:17], v[14:15]
	v_fma_f64 v[16:17], v[196:197], s[4:5], v[30:31]
	v_add_f64 v[18:19], v[18:19], v[48:49]
	v_add_f64 v[6:7], v[10:11], v[6:7]
	v_fma_f64 v[10:11], v[198:199], s[4:5], v[32:33]
	v_add_f64 v[4:5], v[16:17], v[4:5]
	v_fma_f64 v[16:17], v[198:199], s[4:5], -v[32:33]
	v_add_f64 v[10:11], v[10:11], v[8:9]
	v_fma_f64 v[8:9], v[204:205], s[24:25], -v[42:43]
	v_add_f64 v[14:15], v[16:17], v[14:15]
	v_fma_f64 v[16:17], v[204:205], s[24:25], v[42:43]
	v_add_f64 v[8:9], v[8:9], v[6:7]
	v_mul_f64 v[6:7], v[230:231], s[34:35]
	v_add_f64 v[4:5], v[16:17], v[4:5]
	v_fma_f64 v[44:45], v[216:217], s[24:25], v[6:7]
	v_fma_f64 v[6:7], v[216:217], s[24:25], -v[6:7]
	v_add_f64 v[10:11], v[44:45], v[10:11]
	v_add_f64 v[6:7], v[6:7], v[14:15]
	v_mul_f64 v[14:15], v[206:207], s[18:19]
	v_fma_f64 v[16:17], v[148:149], s[20:21], -v[14:15]
	v_fma_f64 v[14:15], v[148:149], s[20:21], v[14:15]
	v_add_f64 v[16:17], v[16:17], v[24:25]
	v_fma_f64 v[24:25], v[188:189], s[24:25], -v[22:23]
	v_add_f64 v[12:13], v[14:15], v[12:13]
	v_fma_f64 v[14:15], v[150:151], s[20:21], -v[20:21]
	v_fma_f64 v[20:21], v[188:189], s[24:25], v[22:23]
	v_add_f64 v[16:17], v[24:25], v[16:17]
	v_mul_f64 v[24:25], v[212:213], s[34:35]
	v_add_f64 v[14:15], v[14:15], v[36:37]
	v_add_f64 v[12:13], v[20:21], v[12:13]
	v_fma_f64 v[30:31], v[190:191], s[24:25], v[24:25]
	v_fma_f64 v[20:21], v[190:191], s[24:25], -v[24:25]
	v_mul_f64 v[24:25], v[206:207], s[34:35]
	v_add_f64 v[18:19], v[30:31], v[18:19]
	v_mul_f64 v[30:31], v[214:215], s[36:37]
	v_add_f64 v[14:15], v[20:21], v[14:15]
	v_fma_f64 v[32:33], v[192:193], s[4:5], -v[30:31]
	v_fma_f64 v[20:21], v[192:193], s[4:5], v[30:31]
	v_mul_f64 v[30:31], v[210:211], s[40:41]
	v_add_f64 v[16:17], v[32:33], v[16:17]
	v_mul_f64 v[32:33], v[218:219], s[36:37]
	v_add_f64 v[12:13], v[20:21], v[12:13]
	v_fma_f64 v[34:35], v[194:195], s[4:5], v[32:33]
	v_fma_f64 v[20:21], v[194:195], s[4:5], -v[32:33]
	v_fma_f64 v[32:33], v[188:189], s[20:21], -v[30:31]
	v_fma_f64 v[30:31], v[188:189], s[20:21], v[30:31]
	v_add_f64 v[18:19], v[34:35], v[18:19]
	v_mul_f64 v[34:35], v[224:225], s[38:39]
	v_add_f64 v[14:15], v[20:21], v[14:15]
	v_fma_f64 v[42:43], v[196:197], s[22:23], -v[34:35]
	v_fma_f64 v[20:21], v[196:197], s[22:23], v[34:35]
	v_add_f64 v[16:17], v[42:43], v[16:17]
	v_mul_f64 v[42:43], v[226:227], s[38:39]
	v_add_f64 v[12:13], v[20:21], v[12:13]
	v_fma_f64 v[44:45], v[198:199], s[22:23], v[42:43]
	v_fma_f64 v[20:21], v[198:199], s[22:23], -v[42:43]
	v_add_f64 v[18:19], v[44:45], v[18:19]
	v_mul_f64 v[44:45], v[228:229], s[42:43]
	v_add_f64 v[14:15], v[20:21], v[14:15]
	v_fma_f64 v[46:47], v[204:205], s[26:27], -v[44:45]
	v_fma_f64 v[20:21], v[204:205], s[26:27], v[44:45]
	v_add_f64 v[16:17], v[46:47], v[16:17]
	v_mul_f64 v[46:47], v[230:231], s[42:43]
	v_add_f64 v[12:13], v[20:21], v[12:13]
	v_fma_f64 v[20:21], v[148:149], s[24:25], -v[24:25]
	v_fma_f64 v[24:25], v[148:149], s[24:25], v[24:25]
	v_fma_f64 v[22:23], v[216:217], s[26:27], -v[46:47]
	v_fma_f64 v[48:49], v[216:217], s[26:27], v[46:47]
	v_add_f64 v[20:21], v[20:21], v[26:27]
	v_mul_f64 v[26:27], v[208:209], s[34:35]
	v_add_f64 v[24:25], v[24:25], v[232:233]
	v_mul_f64 v[232:233], v[228:229], s[44:45]
	v_add_f64 v[14:15], v[22:23], v[14:15]
	v_add_f64 v[18:19], v[48:49], v[18:19]
	;; [unrolled: 1-line block ×3, first 2 shown]
	v_fma_f64 v[22:23], v[150:151], s[24:25], v[26:27]
	v_mul_f64 v[32:33], v[212:213], s[40:41]
	v_fma_f64 v[26:27], v[150:151], s[24:25], -v[26:27]
	v_add_f64 v[24:25], v[30:31], v[24:25]
	v_add_f64 v[22:23], v[22:23], v[50:51]
	v_fma_f64 v[34:35], v[190:191], s[20:21], v[32:33]
	v_add_f64 v[26:27], v[26:27], v[38:39]
	v_fma_f64 v[30:31], v[190:191], s[20:21], -v[32:33]
	v_mul_f64 v[38:39], v[210:211], s[42:43]
	v_add_f64 v[22:23], v[34:35], v[22:23]
	v_mul_f64 v[34:35], v[214:215], s[42:43]
	v_add_f64 v[26:27], v[30:31], v[26:27]
	v_fma_f64 v[36:37], v[192:193], s[26:27], -v[34:35]
	v_fma_f64 v[30:31], v[192:193], s[26:27], v[34:35]
	v_fma_f64 v[34:35], v[188:189], s[26:27], -v[38:39]
	v_fma_f64 v[38:39], v[188:189], s[26:27], v[38:39]
	v_add_f64 v[20:21], v[36:37], v[20:21]
	v_mul_f64 v[36:37], v[218:219], s[42:43]
	v_add_f64 v[24:25], v[30:31], v[24:25]
	v_fma_f64 v[42:43], v[194:195], s[26:27], v[36:37]
	v_fma_f64 v[30:31], v[194:195], s[26:27], -v[36:37]
	v_mul_f64 v[36:37], v[208:209], s[36:37]
	v_add_f64 v[22:23], v[42:43], v[22:23]
	v_mul_f64 v[42:43], v[224:225], s[6:7]
	v_add_f64 v[26:27], v[30:31], v[26:27]
	v_fma_f64 v[44:45], v[196:197], s[0:1], -v[42:43]
	v_fma_f64 v[30:31], v[196:197], s[0:1], v[42:43]
	v_mul_f64 v[42:43], v[212:213], s[42:43]
	v_add_f64 v[20:21], v[44:45], v[20:21]
	v_mul_f64 v[44:45], v[226:227], s[6:7]
	v_add_f64 v[24:25], v[30:31], v[24:25]
	v_fma_f64 v[46:47], v[198:199], s[0:1], v[44:45]
	v_fma_f64 v[30:31], v[198:199], s[0:1], -v[44:45]
	v_mul_f64 v[44:45], v[214:215], s[28:29]
	v_add_f64 v[22:23], v[46:47], v[22:23]
	v_mul_f64 v[46:47], v[228:229], s[16:17]
	v_add_f64 v[26:27], v[30:31], v[26:27]
	v_fma_f64 v[48:49], v[204:205], s[4:5], -v[46:47]
	v_fma_f64 v[30:31], v[204:205], s[4:5], v[46:47]
	v_mul_f64 v[46:47], v[218:219], s[28:29]
	v_add_f64 v[20:21], v[48:49], v[20:21]
	v_mul_f64 v[48:49], v[230:231], s[16:17]
	v_add_f64 v[24:25], v[30:31], v[24:25]
	v_mul_f64 v[30:31], v[206:207], s[36:37]
	v_fma_f64 v[32:33], v[216:217], s[4:5], -v[48:49]
	v_fma_f64 v[50:51], v[216:217], s[4:5], v[48:49]
	v_mul_f64 v[48:49], v[224:225], s[46:47]
	v_add_f64 v[26:27], v[32:33], v[26:27]
	v_fma_f64 v[32:33], v[148:149], s[4:5], -v[30:31]
	v_fma_f64 v[30:31], v[148:149], s[4:5], v[30:31]
	v_add_f64 v[22:23], v[50:51], v[22:23]
	v_mul_f64 v[50:51], v[226:227], s[46:47]
	v_add_f64 v[28:29], v[32:33], v[28:29]
	v_fma_f64 v[32:33], v[150:151], s[4:5], v[36:37]
	v_add_f64 v[30:31], v[30:31], v[236:237]
	v_fma_f64 v[36:37], v[150:151], s[4:5], -v[36:37]
	v_add_f64 v[28:29], v[34:35], v[28:29]
	v_add_f64 v[32:33], v[32:33], v[234:235]
	v_fma_f64 v[34:35], v[190:191], s[26:27], v[42:43]
	v_add_f64 v[36:37], v[36:37], v[40:41]
	v_add_f64 v[30:31], v[38:39], v[30:31]
	v_fma_f64 v[38:39], v[190:191], s[26:27], -v[42:43]
	v_mul_f64 v[42:43], v[208:209], s[38:39]
	v_add_f64 v[32:33], v[34:35], v[32:33]
	v_fma_f64 v[34:35], v[192:193], s[22:23], -v[44:45]
	v_add_f64 v[36:37], v[38:39], v[36:37]
	v_fma_f64 v[38:39], v[192:193], s[22:23], v[44:45]
	v_mul_f64 v[44:45], v[210:211], s[6:7]
	v_add_f64 v[28:29], v[34:35], v[28:29]
	v_fma_f64 v[34:35], v[194:195], s[22:23], v[46:47]
	v_add_f64 v[30:31], v[38:39], v[30:31]
	v_fma_f64 v[38:39], v[194:195], s[22:23], -v[46:47]
	v_fma_f64 v[46:47], v[188:189], s[0:1], -v[44:45]
	v_fma_f64 v[44:45], v[188:189], s[0:1], v[44:45]
	v_add_f64 v[32:33], v[34:35], v[32:33]
	v_fma_f64 v[34:35], v[196:197], s[24:25], -v[48:49]
	v_add_f64 v[36:37], v[38:39], v[36:37]
	v_fma_f64 v[38:39], v[196:197], s[24:25], v[48:49]
	v_add_f64 v[28:29], v[34:35], v[28:29]
	v_fma_f64 v[34:35], v[198:199], s[24:25], v[50:51]
	v_add_f64 v[30:31], v[38:39], v[30:31]
	v_fma_f64 v[38:39], v[198:199], s[24:25], -v[50:51]
	v_add_f64 v[34:35], v[34:35], v[32:33]
	v_fma_f64 v[32:33], v[204:205], s[0:1], -v[232:233]
	v_add_f64 v[36:37], v[38:39], v[36:37]
	v_fma_f64 v[38:39], v[204:205], s[0:1], v[232:233]
	v_add_f64 v[32:33], v[32:33], v[28:29]
	v_mul_f64 v[28:29], v[230:231], s[44:45]
	v_fma_f64 v[40:41], v[216:217], s[0:1], -v[28:29]
	v_fma_f64 v[234:235], v[216:217], s[0:1], v[28:29]
	v_add_f64 v[28:29], v[38:39], v[30:31]
	v_fma_f64 v[38:39], v[150:151], s[22:23], v[42:43]
	v_fma_f64 v[42:43], v[150:151], s[22:23], -v[42:43]
	v_add_f64 v[30:31], v[40:41], v[36:37]
	v_mul_f64 v[40:41], v[206:207], s[38:39]
	v_add_f64 v[34:35], v[234:235], v[34:35]
	v_add_f64 v[38:39], v[38:39], v[244:245]
	;; [unrolled: 1-line block ×3, first 2 shown]
	v_fma_f64 v[36:37], v[148:149], s[22:23], -v[40:41]
	v_fma_f64 v[40:41], v[148:149], s[22:23], v[40:41]
	v_add_f64 v[36:37], v[36:37], v[238:239]
	v_add_f64 v[40:41], v[40:41], v[222:223]
	;; [unrolled: 1-line block ×3, first 2 shown]
	v_mul_f64 v[46:47], v[212:213], s[6:7]
	v_add_f64 v[40:41], v[44:45], v[40:41]
	v_fma_f64 v[48:49], v[190:191], s[0:1], v[46:47]
	v_fma_f64 v[44:45], v[190:191], s[0:1], -v[46:47]
	v_add_f64 v[38:39], v[48:49], v[38:39]
	v_mul_f64 v[48:49], v[214:215], s[46:47]
	v_add_f64 v[42:43], v[44:45], v[42:43]
	v_fma_f64 v[50:51], v[192:193], s[24:25], -v[48:49]
	v_fma_f64 v[44:45], v[192:193], s[24:25], v[48:49]
	v_mul_f64 v[48:49], v[206:207], s[42:43]
	v_add_f64 v[36:37], v[50:51], v[36:37]
	v_mul_f64 v[50:51], v[218:219], s[46:47]
	v_add_f64 v[40:41], v[44:45], v[40:41]
	v_fma_f64 v[232:233], v[194:195], s[24:25], v[50:51]
	v_fma_f64 v[44:45], v[194:195], s[24:25], -v[50:51]
	v_mul_f64 v[50:51], v[208:209], s[42:43]
	v_add_f64 v[38:39], v[232:233], v[38:39]
	v_mul_f64 v[232:233], v[224:225], s[42:43]
	v_add_f64 v[42:43], v[44:45], v[42:43]
	v_fma_f64 v[234:235], v[196:197], s[26:27], -v[232:233]
	v_fma_f64 v[44:45], v[196:197], s[26:27], v[232:233]
	v_add_f64 v[36:37], v[234:235], v[36:37]
	v_mul_f64 v[234:235], v[226:227], s[42:43]
	v_add_f64 v[40:41], v[44:45], v[40:41]
	v_fma_f64 v[236:237], v[198:199], s[26:27], v[234:235]
	v_fma_f64 v[44:45], v[198:199], s[26:27], -v[234:235]
	v_add_f64 v[38:39], v[236:237], v[38:39]
	v_mul_f64 v[236:237], v[228:229], s[18:19]
	v_add_f64 v[42:43], v[44:45], v[42:43]
	v_fma_f64 v[238:239], v[204:205], s[20:21], -v[236:237]
	v_fma_f64 v[44:45], v[204:205], s[20:21], v[236:237]
	v_add_f64 v[36:37], v[238:239], v[36:37]
	v_mul_f64 v[238:239], v[230:231], s[18:19]
	v_add_f64 v[40:41], v[44:45], v[40:41]
	v_fma_f64 v[44:45], v[148:149], s[26:27], -v[48:49]
	v_fma_f64 v[48:49], v[148:149], s[26:27], v[48:49]
	v_fma_f64 v[46:47], v[216:217], s[20:21], -v[238:239]
	v_fma_f64 v[244:245], v[216:217], s[20:21], v[238:239]
	v_add_f64 v[44:45], v[44:45], v[202:203]
	v_add_f64 v[48:49], v[48:49], v[144:145]
	;; [unrolled: 1-line block ×3, first 2 shown]
	v_fma_f64 v[46:47], v[150:151], s[26:27], v[50:51]
	v_fma_f64 v[50:51], v[150:151], s[26:27], -v[50:51]
	v_add_f64 v[38:39], v[244:245], v[38:39]
	v_add_f64 v[244:245], v[248:249], v[52:53]
	buffer_store_dword v52, off, s[48:51], 0 offset:580 ; 4-byte Folded Spill
	buffer_store_dword v53, off, s[48:51], 0 offset:584 ; 4-byte Folded Spill
	;; [unrolled: 1-line block ×8, first 2 shown]
	v_add_f64 v[46:47], v[46:47], v[200:201]
	v_mul_f64 v[200:201], v[210:211], s[16:17]
	v_add_f64 v[50:51], v[50:51], v[146:147]
	v_fma_f64 v[202:203], v[188:189], s[4:5], -v[200:201]
	v_fma_f64 v[148:149], v[188:189], s[4:5], v[200:201]
	v_add_f64 v[200:201], v[78:79], v[68:69]
	v_add_f64 v[44:45], v[202:203], v[44:45]
	v_mul_f64 v[202:203], v[212:213], s[16:17]
	v_add_f64 v[48:49], v[148:149], v[48:49]
	v_fma_f64 v[206:207], v[190:191], s[4:5], v[202:203]
	v_fma_f64 v[150:151], v[190:191], s[4:5], -v[202:203]
	v_add_f64 v[46:47], v[206:207], v[46:47]
	v_mul_f64 v[206:207], v[214:215], s[44:45]
	v_add_f64 v[50:51], v[150:151], v[50:51]
	v_fma_f64 v[208:209], v[192:193], s[0:1], -v[206:207]
	v_fma_f64 v[144:145], v[192:193], s[0:1], v[206:207]
	v_add_f64 v[44:45], v[208:209], v[44:45]
	v_mul_f64 v[208:209], v[218:219], s[44:45]
	v_mul_f64 v[218:219], v[230:231], s[38:39]
	v_add_f64 v[48:49], v[144:145], v[48:49]
	v_fma_f64 v[210:211], v[194:195], s[0:1], v[208:209]
	v_fma_f64 v[146:147], v[194:195], s[0:1], -v[208:209]
	v_add_f64 v[46:47], v[210:211], v[46:47]
	v_mul_f64 v[210:211], v[224:225], s[18:19]
	v_add_f64 v[224:225], v[84:85], v[56:57]
	buffer_store_dword v56, off, s[48:51], 0 offset:596 ; 4-byte Folded Spill
	buffer_store_dword v57, off, s[48:51], 0 offset:600 ; 4-byte Folded Spill
	;; [unrolled: 1-line block ×4, first 2 shown]
	v_add_f64 v[50:51], v[146:147], v[50:51]
	v_fma_f64 v[146:147], v[216:217], s[22:23], -v[218:219]
	v_fma_f64 v[212:213], v[196:197], s[20:21], -v[210:211]
	v_fma_f64 v[148:149], v[196:197], s[20:21], v[210:211]
	v_add_f64 v[196:197], v[76:77], -v[74:75]
	v_add_f64 v[44:45], v[212:213], v[44:45]
	v_mul_f64 v[212:213], v[226:227], s[18:19]
	v_add_f64 v[226:227], v[102:103], -v[58:59]
	buffer_store_dword v58, off, s[48:51], 0 offset:604 ; 4-byte Folded Spill
	buffer_store_dword v59, off, s[48:51], 0 offset:608 ; 4-byte Folded Spill
	v_add_f64 v[48:49], v[148:149], v[48:49]
	v_fma_f64 v[214:215], v[198:199], s[20:21], v[212:213]
	v_fma_f64 v[150:151], v[198:199], s[20:21], -v[212:213]
	v_add_f64 v[212:213], v[80:81], v[64:65]
	buffer_store_dword v64, off, s[48:51], 0 offset:620 ; 4-byte Folded Spill
	buffer_store_dword v65, off, s[48:51], 0 offset:624 ; 4-byte Folded Spill
	;; [unrolled: 1-line block ×4, first 2 shown]
	v_mul_f64 v[230:231], v[226:227], s[6:7]
	v_mul_f64 v[198:199], v[196:197], s[16:17]
	v_add_f64 v[46:47], v[214:215], v[46:47]
	v_mul_f64 v[214:215], v[228:229], s[38:39]
	v_add_f64 v[50:51], v[150:151], v[50:51]
	v_fma_f64 v[220:221], v[204:205], s[22:23], -v[214:215]
	v_fma_f64 v[144:145], v[204:205], s[22:23], v[214:215]
	v_add_f64 v[204:205], v[82:83], -v[70:71]
	v_add_f64 v[50:51], v[146:147], v[50:51]
	v_fma_f64 v[146:147], v[224:225], s[0:1], v[230:231]
	v_add_f64 v[248:249], v[248:249], -v[52:53]
	v_add_f64 v[252:253], v[252:253], v[54:55]
	v_add_f64 v[44:45], v[220:221], v[44:45]
	v_fma_f64 v[220:221], v[216:217], s[22:23], v[218:219]
	v_add_f64 v[216:217], v[86:87], -v[66:67]
	v_add_f64 v[48:49], v[144:145], v[48:49]
	v_fma_f64 v[144:145], v[244:245], s[26:27], v[250:251]
	v_mul_f64 v[210:211], v[204:205], s[18:19]
	v_mul_f64 v[254:255], v[248:249], s[30:31]
	v_add_f64 v[46:47], v[220:221], v[46:47]
	v_mul_f64 v[228:229], v[216:217], s[28:29]
	v_add_f64 v[144:145], v[0:1], v[144:145]
	v_add_f64 v[144:145], v[146:147], v[144:145]
	v_fma_f64 v[146:147], v[252:253], s[26:27], -v[254:255]
	v_add_f64 v[146:147], v[2:3], v[146:147]
	v_add_f64 v[234:235], v[84:85], -v[56:57]
	v_mov_b32_e32 v84, v102
	v_mov_b32_e32 v85, v103
	v_mul_f64 v[238:239], v[234:235], s[6:7]
	v_add_f64 v[236:237], v[102:103], v[58:59]
	v_fma_f64 v[148:149], v[236:237], s[0:1], -v[238:239]
	v_add_f64 v[218:219], v[80:81], -v[64:65]
	s_clause 0x1
	buffer_load_dword v64, off, s[48:51], 0 offset:572
	buffer_load_dword v65, off, s[48:51], 0 offset:576
	buffer_store_dword v66, off, s[48:51], 0 offset:652 ; 4-byte Folded Spill
	buffer_store_dword v67, off, s[48:51], 0 offset:656 ; 4-byte Folded Spill
	v_mov_b32_e32 v80, v86
	v_mov_b32_e32 v81, v87
	v_add_f64 v[146:147], v[148:149], v[146:147]
	v_fma_f64 v[148:149], v[212:213], s[22:23], v[228:229]
	v_mul_f64 v[232:233], v[218:219], s[28:29]
	v_add_f64 v[144:145], v[148:149], v[144:145]
	v_add_f64 v[222:223], v[86:87], v[66:67]
	s_clause 0x1
	buffer_load_dword v66, off, s[48:51], 0 offset:556
	buffer_load_dword v67, off, s[48:51], 0 offset:560
	buffer_store_dword v68, off, s[48:51], 0 offset:668 ; 4-byte Folded Spill
	buffer_store_dword v69, off, s[48:51], 0 offset:672 ; 4-byte Folded Spill
	v_mov_b32_e32 v87, v79
	v_mov_b32_e32 v86, v78
	v_fma_f64 v[148:149], v[222:223], s[22:23], -v[232:233]
	v_add_f64 v[146:147], v[148:149], v[146:147]
	v_fma_f64 v[148:149], v[200:201], s[20:21], v[210:211]
	v_add_f64 v[144:145], v[148:149], v[144:145]
	v_add_f64 v[208:209], v[78:79], -v[68:69]
	s_clause 0x1
	buffer_load_dword v68, off, s[48:51], 0 offset:524
	buffer_load_dword v69, off, s[48:51], 0 offset:528
	buffer_store_dword v70, off, s[48:51], 0 offset:684 ; 4-byte Folded Spill
	buffer_store_dword v71, off, s[48:51], 0 offset:688 ; 4-byte Folded Spill
	s_waitcnt vmcnt(2)
	v_add_f64 v[150:151], v[66:67], v[72:73]
	v_mov_b32_e32 v78, v82
	v_mov_b32_e32 v79, v83
	v_mul_f64 v[220:221], v[208:209], s[18:19]
	v_add_f64 v[214:215], v[82:83], v[70:71]
	s_clause 0x1
	buffer_load_dword v70, off, s[48:51], 0 offset:508
	buffer_load_dword v71, off, s[48:51], 0 offset:512
	buffer_store_dword v72, off, s[48:51], 0 offset:732 ; 4-byte Folded Spill
	buffer_store_dword v73, off, s[48:51], 0 offset:736 ; 4-byte Folded Spill
	;; [unrolled: 1-line block ×4, first 2 shown]
	v_mov_b32_e32 v83, v77
	v_mov_b32_e32 v82, v76
	v_fma_f64 v[148:149], v[214:215], s[20:21], -v[220:221]
	v_add_f64 v[146:147], v[148:149], v[146:147]
	v_fma_f64 v[148:149], v[150:151], s[4:5], v[198:199]
	v_add_f64 v[190:191], v[148:149], v[144:145]
	v_add_f64 v[194:195], v[66:67], -v[72:73]
	v_add_f64 v[206:207], v[76:77], v[74:75]
	s_clause 0x1
	buffer_load_dword v76, off, s[48:51], 0 offset:540
	buffer_load_dword v77, off, s[48:51], 0 offset:544
	v_mul_f64 v[202:203], v[194:195], s[16:17]
	v_fma_f64 v[144:145], v[206:207], s[4:5], -v[202:203]
	v_add_f64 v[52:53], v[144:145], v[146:147]
	s_waitcnt vmcnt(4)
	v_add_f64 v[144:145], v[64:65], v[68:69]
	s_waitcnt vmcnt(0)
	v_add_f64 v[188:189], v[70:71], -v[76:77]
	v_add_f64 v[192:193], v[70:71], v[76:77]
	v_mul_f64 v[148:149], v[188:189], s[34:35]
	v_fma_f64 v[146:147], v[144:145], s[24:25], v[148:149]
	v_add_f64 v[56:57], v[146:147], v[190:191]
	v_add_f64 v[146:147], v[64:65], -v[68:69]
	v_mul_f64 v[190:191], v[146:147], s[34:35]
	v_fma_f64 v[54:55], v[192:193], s[24:25], -v[190:191]
	v_add_f64 v[58:59], v[54:55], v[52:53]
	v_add_f64 v[52:53], v[240:241], v[94:95]
	;; [unrolled: 1-line block ×3, first 2 shown]
	v_mul_f64 v[94:95], v[194:195], s[38:39]
	buffer_store_dword v56, off, s[48:51], 0 offset:24 ; 4-byte Folded Spill
	buffer_store_dword v57, off, s[48:51], 0 offset:28 ; 4-byte Folded Spill
	;; [unrolled: 1-line block ×4, first 2 shown]
	v_add_f64 v[52:53], v[52:53], v[90:91]
	v_add_f64 v[54:55], v[54:55], v[154:155]
	v_mul_f64 v[154:155], v[208:209], s[36:37]
	v_add_f64 v[52:53], v[52:53], v[156:157]
	v_add_f64 v[54:55], v[54:55], v[158:159]
	v_mul_f64 v[156:157], v[216:217], s[34:35]
	v_mul_f64 v[158:159], v[218:219], s[34:35]
	v_add_f64 v[52:53], v[52:53], v[160:161]
	v_add_f64 v[54:55], v[54:55], v[162:163]
	v_mul_f64 v[160:161], v[226:227], s[18:19]
	;; [unrolled: 4-line block ×3, first 2 shown]
	v_mul_f64 v[166:167], v[248:249], s[6:7]
	v_fma_f64 v[88:89], v[236:237], s[20:21], -v[162:163]
	v_add_f64 v[52:53], v[52:53], v[168:169]
	v_add_f64 v[54:55], v[54:55], v[172:173]
	;; [unrolled: 1-line block ×11, first 2 shown]
	v_fma_f64 v[52:53], v[244:245], s[0:1], v[164:165]
	v_add_f64 v[170:171], v[54:55], v[152:153]
	v_fma_f64 v[54:55], v[224:225], s[20:21], v[160:161]
	v_mul_f64 v[152:153], v[204:205], s[36:37]
	v_mul_f64 v[92:93], v[196:197], s[38:39]
	v_add_f64 v[52:53], v[0:1], v[52:53]
	v_add_f64 v[52:53], v[54:55], v[52:53]
	v_fma_f64 v[54:55], v[252:253], s[0:1], -v[166:167]
	v_add_f64 v[54:55], v[2:3], v[54:55]
	v_add_f64 v[54:55], v[88:89], v[54:55]
	v_fma_f64 v[88:89], v[212:213], s[24:25], v[156:157]
	v_add_f64 v[52:53], v[88:89], v[52:53]
	v_fma_f64 v[88:89], v[222:223], s[24:25], -v[158:159]
	v_add_f64 v[54:55], v[88:89], v[54:55]
	v_fma_f64 v[88:89], v[200:201], s[4:5], v[152:153]
	v_add_f64 v[52:53], v[88:89], v[52:53]
	v_fma_f64 v[88:89], v[214:215], s[4:5], -v[154:155]
	;; [unrolled: 4-line block ×3, first 2 shown]
	v_add_f64 v[54:55], v[88:89], v[54:55]
	v_mul_f64 v[88:89], v[188:189], s[42:43]
	v_fma_f64 v[90:91], v[144:145], s[26:27], v[88:89]
	v_add_f64 v[172:173], v[90:91], v[52:53]
	v_mul_f64 v[90:91], v[146:147], s[42:43]
	v_fma_f64 v[52:53], v[192:193], s[26:27], -v[90:91]
	v_add_f64 v[174:175], v[52:53], v[54:55]
	buffer_store_dword v172, off, s[48:51], 0 offset:8 ; 4-byte Folded Spill
	buffer_store_dword v173, off, s[48:51], 0 offset:12 ; 4-byte Folded Spill
	;; [unrolled: 1-line block ×4, first 2 shown]
	buffer_load_dword v53, off, s[48:51], 0 offset:4 ; 4-byte Folded Reload
	v_lshrrev_b32_e32 v52, 2, v101
	s_waitcnt vmcnt(0)
	s_waitcnt_vscnt null, 0x0
	s_barrier
	buffer_gl0_inv
	v_mul_u32_u24_e32 v52, 52, v52
	v_or_b32_e32 v52, v52, v53
	v_lshlrev_b32_e32 v102, 4, v52
	ds_write_b128 v102, v[168:171]
	ds_write_b128 v102, v[8:11] offset:64
	ds_write_b128 v102, v[16:19] offset:128
	ds_write_b128 v102, v[20:23] offset:192
	ds_write_b128 v102, v[32:35] offset:256
	ds_write_b128 v102, v[36:39] offset:320
	ds_write_b128 v102, v[44:47] offset:384
	ds_write_b128 v102, v[48:51] offset:448
	ds_write_b128 v102, v[40:43] offset:512
	ds_write_b128 v102, v[28:31] offset:576
	ds_write_b128 v102, v[24:27] offset:640
	ds_write_b128 v102, v[12:15] offset:704
	ds_write_b128 v102, v[4:7] offset:768
	buffer_load_dword v4, off, s[48:51], 0 offset:492 ; 4-byte Folded Reload
	s_waitcnt vmcnt(0)
	v_lshrrev_b32_e32 v101, 2, v4
	s_and_saveexec_b32 s33, vcc_lo
	s_cbranch_execz .LBB0_5
; %bb.4:
	s_clause 0x3
	buffer_load_dword v44, off, s[48:51], 0 offset:828
	buffer_load_dword v45, off, s[48:51], 0 offset:832
	;; [unrolled: 1-line block ×4, first 2 shown]
	v_mul_f64 v[8:9], v[244:245], s[26:27]
	v_mul_f64 v[10:11], v[244:245], s[0:1]
	;; [unrolled: 1-line block ×13, first 2 shown]
	v_add_f64 v[8:9], v[8:9], -v[250:251]
	v_add_f64 v[10:11], v[10:11], -v[164:165]
	v_fma_f64 v[36:37], v[244:245], s[24:25], v[28:29]
	v_fma_f64 v[28:29], v[244:245], s[24:25], -v[28:29]
	v_fma_f64 v[38:39], v[244:245], s[4:5], v[30:31]
	v_fma_f64 v[30:31], v[244:245], s[4:5], -v[30:31]
	;; [unrolled: 2-line block ×3, first 2 shown]
	v_fma_f64 v[42:43], v[244:245], s[22:23], -v[34:35]
	v_fma_f64 v[34:35], v[244:245], s[22:23], v[34:35]
	v_add_f64 v[4:5], v[166:167], v[4:5]
	v_add_f64 v[6:7], v[254:255], v[6:7]
	v_fma_f64 v[20:21], v[248:249], s[46:47], v[12:13]
	v_fma_f64 v[12:13], v[248:249], s[34:35], v[12:13]
	;; [unrolled: 1-line block ×8, first 2 shown]
	v_add_f64 v[58:59], v[238:239], v[58:59]
	v_add_f64 v[8:9], v[0:1], v[8:9]
	;; [unrolled: 1-line block ×20, first 2 shown]
	v_mul_f64 v[58:59], v[212:213], s[22:23]
	v_add_f64 v[58:59], v[58:59], -v[228:229]
	s_waitcnt vmcnt(2)
	v_add_f64 v[44:45], v[2:3], v[44:45]
	s_waitcnt vmcnt(0)
	v_add_f64 v[46:47], v[0:1], v[46:47]
	v_add_f64 v[0:1], v[0:1], v[34:35]
	s_clause 0x1
	buffer_load_dword v34, off, s[48:51], 0 offset:780
	buffer_load_dword v35, off, s[48:51], 0 offset:784
	v_add_f64 v[2:3], v[2:3], v[18:19]
	v_add_f64 v[18:19], v[44:45], v[84:85]
	v_mul_f64 v[44:45], v[236:237], s[26:27]
	v_add_f64 v[18:19], v[18:19], v[80:81]
	v_add_f64 v[18:19], v[18:19], v[78:79]
	;; [unrolled: 1-line block ×3, first 2 shown]
	v_mul_f64 v[82:83], v[188:189], s[18:19]
	v_add_f64 v[18:19], v[18:19], v[70:71]
	v_mul_f64 v[70:71], v[226:227], s[34:35]
	v_add_f64 v[18:19], v[18:19], v[76:77]
	v_mul_f64 v[76:77], v[192:193], s[22:23]
	s_waitcnt vmcnt(0)
	v_add_f64 v[34:35], v[46:47], v[34:35]
	v_fma_f64 v[46:47], v[234:235], s[30:31], v[44:45]
	v_fma_f64 v[44:45], v[234:235], s[42:43], v[44:45]
	v_add_f64 v[20:21], v[46:47], v[20:21]
	v_mul_f64 v[46:47], v[226:227], s[42:43]
	v_add_f64 v[12:13], v[44:45], v[12:13]
	v_fma_f64 v[44:45], v[224:225], s[26:27], -v[46:47]
	v_fma_f64 v[48:49], v[224:225], s[26:27], v[46:47]
	v_add_f64 v[28:29], v[44:45], v[28:29]
	v_mul_f64 v[44:45], v[236:237], s[22:23]
	v_add_f64 v[36:37], v[48:49], v[36:37]
	v_fma_f64 v[46:47], v[234:235], s[28:29], v[44:45]
	v_fma_f64 v[44:45], v[234:235], s[38:39], v[44:45]
	v_add_f64 v[22:23], v[46:47], v[22:23]
	s_clause 0x1
	buffer_load_dword v46, off, s[48:51], 0 offset:796
	buffer_load_dword v47, off, s[48:51], 0 offset:800
	v_add_f64 v[14:15], v[44:45], v[14:15]
	v_mul_f64 v[44:45], v[222:223], s[4:5]
	s_clause 0x1
	buffer_load_dword v56, off, s[48:51], 0 offset:748
	buffer_load_dword v57, off, s[48:51], 0 offset:752
	s_waitcnt vmcnt(2)
	v_add_f64 v[34:35], v[34:35], v[46:47]
	v_mul_f64 v[46:47], v[226:227], s[38:39]
	s_waitcnt vmcnt(0)
	v_add_f64 v[18:19], v[18:19], v[56:57]
	s_clause 0x1
	buffer_load_dword v56, off, s[48:51], 0 offset:732
	buffer_load_dword v57, off, s[48:51], 0 offset:736
	v_add_f64 v[34:35], v[34:35], v[86:87]
	v_fma_f64 v[48:49], v[224:225], s[22:23], v[46:47]
	v_fma_f64 v[46:47], v[224:225], s[22:23], -v[46:47]
	v_mul_f64 v[86:87], v[192:193], s[0:1]
	v_add_f64 v[34:35], v[34:35], v[66:67]
	v_add_f64 v[38:39], v[48:49], v[38:39]
	v_fma_f64 v[48:49], v[218:219], s[36:37], v[44:45]
	v_fma_f64 v[44:45], v[218:219], s[16:17], v[44:45]
	v_add_f64 v[30:31], v[46:47], v[30:31]
	v_mul_f64 v[46:47], v[236:237], s[4:5]
	v_add_f64 v[34:35], v[34:35], v[64:65]
	v_mul_f64 v[64:65], v[224:225], s[0:1]
	;; [unrolled: 2-line block ×3, first 2 shown]
	v_add_f64 v[12:13], v[44:45], v[12:13]
	v_add_f64 v[34:35], v[34:35], v[68:69]
	v_add_f64 v[64:65], v[64:65], -v[230:231]
	v_fma_f64 v[44:45], v[212:213], s[4:5], -v[48:49]
	v_fma_f64 v[50:51], v[212:213], s[4:5], v[48:49]
	v_add_f64 v[8:9], v[64:65], v[8:9]
	v_add_f64 v[28:29], v[44:45], v[28:29]
	v_mul_f64 v[44:45], v[222:223], s[0:1]
	v_add_f64 v[36:37], v[50:51], v[36:37]
	v_add_f64 v[8:9], v[58:59], v[8:9]
	v_mul_f64 v[58:59], v[204:205], s[42:43]
	v_fma_f64 v[48:49], v[218:219], s[44:45], v[44:45]
	v_fma_f64 v[44:45], v[218:219], s[6:7], v[44:45]
	v_add_f64 v[22:23], v[48:49], v[22:23]
	v_fma_f64 v[48:49], v[234:235], s[16:17], v[46:47]
	v_add_f64 v[14:15], v[44:45], v[14:15]
	;; [unrolled: 2-line block ×3, first 2 shown]
	v_mul_f64 v[48:49], v[216:217], s[6:7]
	v_add_f64 v[16:17], v[46:47], v[16:17]
	v_fma_f64 v[50:51], v[212:213], s[0:1], v[48:49]
	v_fma_f64 v[44:45], v[212:213], s[0:1], -v[48:49]
	v_add_f64 v[38:39], v[50:51], v[38:39]
	v_mul_f64 v[50:51], v[214:215], s[0:1]
	v_add_f64 v[30:31], v[44:45], v[30:31]
	v_mul_f64 v[44:45], v[222:223], s[26:27]
	v_fma_f64 v[52:53], v[208:209], s[6:7], v[50:51]
	v_fma_f64 v[50:51], v[208:209], s[44:45], v[50:51]
	;; [unrolled: 1-line block ×4, first 2 shown]
	v_add_f64 v[20:21], v[52:53], v[20:21]
	v_mul_f64 v[52:53], v[204:205], s[44:45]
	v_add_f64 v[12:13], v[50:51], v[12:13]
	v_add_f64 v[24:25], v[48:49], v[24:25]
	v_mul_f64 v[48:49], v[226:227], s[36:37]
	v_add_f64 v[16:17], v[44:45], v[16:17]
	v_fma_f64 v[50:51], v[200:201], s[0:1], -v[52:53]
	v_fma_f64 v[54:55], v[200:201], s[0:1], v[52:53]
	v_add_f64 v[28:29], v[50:51], v[28:29]
	v_mul_f64 v[50:51], v[214:215], s[24:25]
	v_add_f64 v[36:37], v[54:55], v[36:37]
	s_waitcnt vmcnt(0)
	v_add_f64 v[34:35], v[34:35], v[56:57]
	v_mul_f64 v[56:57], v[216:217], s[40:41]
	v_fma_f64 v[52:53], v[208:209], s[34:35], v[50:51]
	v_fma_f64 v[46:47], v[208:209], s[46:47], v[50:51]
	v_fma_f64 v[64:65], v[212:213], s[20:21], -v[56:57]
	v_fma_f64 v[56:57], v[212:213], s[20:21], v[56:57]
	v_add_f64 v[22:23], v[52:53], v[22:23]
	v_fma_f64 v[52:53], v[224:225], s[4:5], v[48:49]
	v_add_f64 v[14:15], v[46:47], v[14:15]
	v_fma_f64 v[48:49], v[224:225], s[4:5], -v[48:49]
	v_add_f64 v[40:41], v[52:53], v[40:41]
	v_mul_f64 v[52:53], v[206:207], s[20:21]
	v_add_f64 v[32:33], v[48:49], v[32:33]
	v_mul_f64 v[48:49], v[222:223], s[20:21]
	v_fma_f64 v[54:55], v[194:195], s[40:41], v[52:53]
	v_fma_f64 v[52:53], v[194:195], s[18:19], v[52:53]
	v_add_f64 v[20:21], v[54:55], v[20:21]
	v_mul_f64 v[54:55], v[196:197], s[18:19]
	v_add_f64 v[12:13], v[52:53], v[12:13]
	v_fma_f64 v[52:53], v[150:151], s[20:21], -v[54:55]
	v_fma_f64 v[74:75], v[150:151], s[20:21], v[54:55]
	v_add_f64 v[28:29], v[52:53], v[28:29]
	v_mul_f64 v[52:53], v[206:207], s[26:27]
	v_add_f64 v[36:37], v[74:75], v[36:37]
	v_mul_f64 v[74:75], v[222:223], s[22:23]
	v_fma_f64 v[54:55], v[194:195], s[30:31], v[52:53]
	v_fma_f64 v[44:45], v[194:195], s[42:43], v[52:53]
	v_add_f64 v[74:75], v[232:233], v[74:75]
	v_add_f64 v[22:23], v[54:55], v[22:23]
	v_mul_f64 v[54:55], v[204:205], s[46:47]
	v_add_f64 v[6:7], v[74:75], v[6:7]
	v_add_f64 v[14:15], v[44:45], v[14:15]
	v_mul_f64 v[74:75], v[206:207], s[0:1]
	v_fma_f64 v[72:73], v[200:201], s[24:25], v[54:55]
	v_fma_f64 v[46:47], v[200:201], s[24:25], -v[54:55]
	v_add_f64 v[38:39], v[72:73], v[38:39]
	v_fma_f64 v[72:73], v[224:225], s[24:25], -v[70:71]
	v_add_f64 v[30:31], v[46:47], v[30:31]
	v_mul_f64 v[46:47], v[214:215], s[22:23]
	v_fma_f64 v[70:71], v[224:225], s[24:25], v[70:71]
	v_add_f64 v[42:43], v[72:73], v[42:43]
	s_clause 0x1
	buffer_load_dword v72, off, s[48:51], 0 offset:684
	buffer_load_dword v73, off, s[48:51], 0 offset:688
	v_fma_f64 v[50:51], v[208:209], s[38:39], v[46:47]
	v_fma_f64 v[46:47], v[208:209], s[28:29], v[46:47]
	v_add_f64 v[0:1], v[70:71], v[0:1]
	v_mul_f64 v[70:71], v[200:201], s[20:21]
	v_add_f64 v[42:43], v[64:65], v[42:43]
	v_mul_f64 v[64:65], v[206:207], s[22:23]
	;; [unrolled: 2-line block ×5, first 2 shown]
	v_add_f64 v[70:71], v[70:71], -v[210:211]
	v_add_f64 v[64:65], v[94:95], v[64:65]
	v_mul_f64 v[94:95], v[144:145], s[24:25]
	v_fma_f64 v[54:55], v[212:213], s[26:27], v[50:51]
	v_fma_f64 v[50:51], v[212:213], s[26:27], -v[50:51]
	v_add_f64 v[46:47], v[162:163], v[46:47]
	v_add_f64 v[56:57], v[56:57], -v[92:93]
	v_add_f64 v[8:9], v[70:71], v[8:9]
	v_mul_f64 v[70:71], v[192:193], s[26:27]
	v_add_f64 v[40:41], v[54:55], v[40:41]
	v_mul_f64 v[54:55], v[196:197], s[42:43]
	;; [unrolled: 2-line block ×3, first 2 shown]
	v_add_f64 v[32:33], v[50:51], v[32:33]
	v_add_f64 v[70:71], v[90:91], v[70:71]
	v_fma_f64 v[66:67], v[150:151], s[26:27], v[54:55]
	v_fma_f64 v[44:45], v[150:151], s[26:27], -v[54:55]
	v_add_f64 v[46:47], v[46:47], -v[156:157]
	v_add_f64 v[38:39], v[66:67], v[38:39]
	v_mul_f64 v[66:67], v[236:237], s[24:25]
	v_add_f64 v[44:45], v[44:45], v[30:31]
	v_mul_f64 v[30:31], v[206:207], s[24:25]
	v_fma_f64 v[68:69], v[234:235], s[34:35], v[66:67]
	v_fma_f64 v[66:67], v[234:235], s[46:47], v[66:67]
	;; [unrolled: 1-line block ×4, first 2 shown]
	v_add_f64 v[26:27], v[68:69], v[26:27]
	v_mul_f64 v[68:69], v[222:223], s[24:25]
	v_add_f64 v[52:53], v[52:53], v[24:25]
	v_mul_f64 v[24:25], v[204:205], s[28:29]
	;; [unrolled: 2-line block ×4, first 2 shown]
	v_add_f64 v[68:69], v[158:159], v[68:69]
	v_fma_f64 v[54:55], v[200:201], s[22:23], v[24:25]
	v_fma_f64 v[24:25], v[200:201], s[22:23], -v[24:25]
	v_add_f64 v[66:67], v[66:67], -v[152:153]
	v_mul_f64 v[152:153], v[192:193], s[4:5]
	v_add_f64 v[4:5], v[68:69], v[4:5]
	v_mul_f64 v[68:69], v[214:215], s[20:21]
	v_add_f64 v[40:41], v[54:55], v[40:41]
	;; [unrolled: 2-line block ×3, first 2 shown]
	v_mul_f64 v[32:33], v[144:145], s[26:27]
	v_fma_f64 v[90:91], v[146:147], s[16:17], v[152:153]
	v_add_f64 v[68:69], v[220:221], v[68:69]
	v_add_f64 v[54:55], v[54:55], -v[160:161]
	v_add_f64 v[6:7], v[68:69], v[6:7]
	v_mul_f64 v[68:69], v[196:197], s[6:7]
	v_add_f64 v[10:11], v[54:55], v[10:11]
	v_fma_f64 v[54:55], v[218:219], s[40:41], v[48:49]
	v_fma_f64 v[48:49], v[218:219], s[18:19], v[48:49]
	v_fma_f64 v[92:93], v[150:151], s[0:1], -v[68:69]
	v_add_f64 v[10:11], v[46:47], v[10:11]
	v_mul_f64 v[46:47], v[214:215], s[26:27]
	v_add_f64 v[2:3], v[48:49], v[2:3]
	v_add_f64 v[26:27], v[54:55], v[26:27]
	v_mul_f64 v[54:55], v[214:215], s[4:5]
	v_fma_f64 v[48:49], v[200:201], s[26:27], -v[58:59]
	v_fma_f64 v[58:59], v[200:201], s[26:27], v[58:59]
	v_fma_f64 v[68:69], v[150:151], s[0:1], v[68:69]
	v_add_f64 v[10:11], v[66:67], v[10:11]
	v_fma_f64 v[50:51], v[208:209], s[42:43], v[46:47]
	v_fma_f64 v[46:47], v[208:209], s[30:31], v[46:47]
	;; [unrolled: 1-line block ×3, first 2 shown]
	v_add_f64 v[54:55], v[154:155], v[54:55]
	v_add_f64 v[42:43], v[48:49], v[42:43]
	v_mul_f64 v[48:49], v[188:189], s[38:39]
	v_add_f64 v[0:1], v[58:59], v[0:1]
	v_mul_f64 v[58:59], v[188:189], s[16:17]
	v_add_f64 v[56:57], v[56:57], v[10:11]
	v_add_f64 v[26:27], v[50:51], v[26:27]
	;; [unrolled: 1-line block ×4, first 2 shown]
	s_waitcnt vmcnt(0)
	v_add_f64 v[18:19], v[18:19], v[72:73]
	s_clause 0x5
	buffer_load_dword v72, off, s[48:51], 0 offset:668
	buffer_load_dword v73, off, s[48:51], 0 offset:672
	;; [unrolled: 1-line block ×6, first 2 shown]
	v_add_f64 v[66:67], v[32:33], -v[88:89]
	v_add_f64 v[88:89], v[94:95], -v[148:149]
	v_add_f64 v[4:5], v[54:55], v[4:5]
	v_fma_f64 v[32:33], v[146:147], s[40:41], v[30:31]
	v_mul_f64 v[50:51], v[150:151], s[4:5]
	v_mul_f64 v[54:55], v[196:197], s[46:47]
	v_fma_f64 v[30:31], v[146:147], s[18:19], v[30:31]
	v_fma_f64 v[156:157], v[144:145], s[4:5], -v[58:59]
	v_add_f64 v[42:43], v[92:93], v[42:43]
	v_fma_f64 v[58:59], v[144:145], s[4:5], v[58:59]
	v_add_f64 v[68:69], v[68:69], v[0:1]
	v_add_f64 v[20:21], v[64:65], v[4:5]
	v_fma_f64 v[64:65], v[146:147], s[38:39], v[76:77]
	v_add_f64 v[10:11], v[32:33], v[22:23]
	v_add_f64 v[50:51], v[50:51], -v[198:199]
	v_fma_f64 v[84:85], v[150:151], s[24:25], v[54:55]
	v_fma_f64 v[54:55], v[150:151], s[24:25], -v[54:55]
	v_mul_f64 v[150:151], v[188:189], s[44:45]
	v_fma_f64 v[4:5], v[144:145], s[22:23], v[48:49]
	v_fma_f64 v[48:49], v[144:145], s[22:23], -v[48:49]
	v_add_f64 v[14:15], v[30:31], v[14:15]
	v_add_f64 v[50:51], v[50:51], v[8:9]
	v_add_f64 v[40:41], v[84:85], v[40:41]
	v_add_f64 v[54:55], v[54:55], v[24:25]
	v_fma_f64 v[148:149], v[144:145], s[0:1], -v[150:151]
	v_fma_f64 v[92:93], v[144:145], s[0:1], v[150:151]
	v_fma_f64 v[84:85], v[146:147], s[36:37], v[152:153]
	v_add_f64 v[0:1], v[4:5], v[36:37]
	v_add_f64 v[4:5], v[48:49], v[28:29]
	;; [unrolled: 1-line block ×6, first 2 shown]
	s_waitcnt vmcnt(4)
	v_add_f64 v[34:35], v[34:35], v[72:73]
	v_mul_f64 v[72:73], v[206:207], s[4:5]
	s_waitcnt vmcnt(2)
	v_add_f64 v[18:19], v[18:19], v[78:79]
	v_mul_f64 v[78:79], v[192:193], s[24:25]
	s_waitcnt vmcnt(0)
	v_add_f64 v[34:35], v[34:35], v[80:81]
	v_add_f64 v[72:73], v[202:203], v[72:73]
	v_fma_f64 v[80:81], v[194:195], s[6:7], v[74:75]
	v_fma_f64 v[74:75], v[194:195], s[44:45], v[74:75]
	v_add_f64 v[76:77], v[190:191], v[78:79]
	v_fma_f64 v[78:79], v[144:145], s[20:21], v[82:83]
	v_add_f64 v[72:73], v[72:73], v[6:7]
	s_clause 0x1
	buffer_load_dword v6, off, s[48:51], 0 offset:604
	buffer_load_dword v7, off, s[48:51], 0 offset:608
	v_add_f64 v[26:27], v[80:81], v[26:27]
	v_fma_f64 v[80:81], v[144:145], s[20:21], -v[82:83]
	v_fma_f64 v[82:83], v[146:147], s[6:7], v[86:87]
	v_fma_f64 v[86:87], v[146:147], s[44:45], v[86:87]
	v_add_f64 v[46:47], v[74:75], v[46:47]
	v_add_f64 v[8:9], v[78:79], v[38:39]
	;; [unrolled: 1-line block ×8, first 2 shown]
	s_waitcnt vmcnt(0)
	v_add_f64 v[94:95], v[18:19], v[6:7]
	s_clause 0x1
	buffer_load_dword v6, off, s[48:51], 0 offset:596
	buffer_load_dword v7, off, s[48:51], 0 offset:600
	v_add_f64 v[18:19], v[86:87], v[16:17]
	v_add_f64 v[16:17], v[148:149], v[54:55]
	s_waitcnt vmcnt(0)
	v_add_f64 v[154:155], v[34:35], v[6:7]
	v_add_f64 v[6:7], v[64:65], v[12:13]
	s_clause 0x1
	buffer_load_dword v12, off, s[48:51], 0 offset:588
	buffer_load_dword v13, off, s[48:51], 0 offset:592
	s_waitcnt vmcnt(0)
	v_add_f64 v[34:35], v[94:95], v[12:13]
	s_clause 0x1
	buffer_load_dword v12, off, s[48:51], 0 offset:580
	buffer_load_dword v13, off, s[48:51], 0 offset:584
	s_waitcnt vmcnt(0)
	v_add_f64 v[32:33], v[154:155], v[12:13]
	v_add_f64 v[12:13], v[80:81], v[44:45]
	buffer_load_dword v45, off, s[48:51], 0 offset:4 ; 4-byte Folded Reload
	v_mul_u32_u24_e32 v44, 52, v101
	s_waitcnt vmcnt(0)
	v_or_b32_e32 v44, v44, v45
	v_lshlrev_b32_e32 v44, 4, v44
	ds_write_b128 v44, v[32:35]
	ds_write_b128 v44, v[28:31] offset:64
	ds_write_b128 v44, v[24:27] offset:128
	;; [unrolled: 1-line block ×10, first 2 shown]
	s_clause 0x3
	buffer_load_dword v0, off, s[48:51], 0 offset:8
	buffer_load_dword v1, off, s[48:51], 0 offset:12
	;; [unrolled: 1-line block ×4, first 2 shown]
	s_waitcnt vmcnt(0)
	ds_write_b128 v44, v[0:3] offset:704
	s_clause 0x3
	buffer_load_dword v0, off, s[48:51], 0 offset:24
	buffer_load_dword v1, off, s[48:51], 0 offset:28
	;; [unrolled: 1-line block ×4, first 2 shown]
	s_waitcnt vmcnt(0)
	ds_write_b128 v44, v[0:3] offset:768
.LBB0_5:
	s_or_b32 exec_lo, exec_lo, s33
	s_clause 0x1
	buffer_load_dword v4, off, s[48:51], 0 offset:476
	buffer_load_dword v3, off, s[48:51], 0 offset:472
	s_waitcnt vmcnt(0) lgkmcnt(0)
	buffer_load_dword v2, off, s[48:51], 0  ; 4-byte Folded Reload
	s_barrier
	s_waitcnt vmcnt(0)
	buffer_gl0_inv
	s_clause 0x2
	buffer_load_dword v170, off, s[48:51], 0 offset:636
	buffer_load_dword v168, off, s[48:51], 0 offset:700
	;; [unrolled: 1-line block ×3, first 2 shown]
	v_mov_b32_e32 v24, 0x4ec5
	v_mov_b32_e32 v81, 4
	s_mov_b32 s5, 0xbfebb67a
	v_and_b32_e32 v0, 0xff, v4
	v_and_b32_e32 v1, 0xff, v3
	v_lshlrev_b32_e32 v80, 4, v2
	v_mul_lo_u16 v0, 0x4f, v0
	v_mul_lo_u16 v1, 0x4f, v1
	s_waitcnt vmcnt(2)
	v_mul_u32_u24_sdwa v32, v170, v24 dst_sel:DWORD dst_unused:UNUSED_PAD src0_sel:WORD_0 src1_sel:DWORD
	s_waitcnt vmcnt(0)
	v_mul_u32_u24_sdwa v48, v169, v24 dst_sel:DWORD dst_unused:UNUSED_PAD src0_sel:WORD_0 src1_sel:DWORD
	global_load_dwordx4 v[144:147], v80, s[14:15] offset:800
	v_lshrrev_b16 v0, 12, v0
	v_lshrrev_b16 v1, 12, v1
	v_mul_u32_u24_sdwa v58, v168, v24 dst_sel:DWORD dst_unused:UNUSED_PAD src0_sel:WORD_0 src1_sel:DWORD
	v_lshrrev_b32_e32 v2, 20, v48
	v_mul_lo_u16 v0, v0, 52
	v_mul_lo_u16 v1, v1, 52
	;; [unrolled: 1-line block ×3, first 2 shown]
	v_sub_nc_u16 v0, v4, v0
	v_sub_nc_u16 v1, v3, v1
	;; [unrolled: 1-line block ×3, first 2 shown]
	v_lshlrev_b32_sdwa v79, v81, v0 dst_sel:DWORD dst_unused:UNUSED_PAD src0_sel:DWORD src1_sel:BYTE_0
	v_lshrrev_b32_e32 v0, 20, v32
	v_lshlrev_b32_sdwa v59, v81, v1 dst_sel:DWORD dst_unused:UNUSED_PAD src0_sel:DWORD src1_sel:BYTE_0
	v_lshlrev_b32_sdwa v47, v81, v2 dst_sel:DWORD dst_unused:UNUSED_PAD src0_sel:DWORD src1_sel:WORD_0
	global_load_dwordx4 v[49:52], v79, s[14:15] offset:800
	v_mul_lo_u16 v0, v0, 52
	global_load_dwordx4 v[53:56], v59, s[14:15] offset:800
	v_sub_nc_u16 v0, v170, v0
	v_lshlrev_b32_sdwa v57, v81, v0 dst_sel:DWORD dst_unused:UNUSED_PAD src0_sel:DWORD src1_sel:WORD_0
	v_lshrrev_b32_e32 v0, 20, v58
	s_clause 0x1
	global_load_dwordx4 v[82:85], v57, s[14:15] offset:800
	global_load_dwordx4 v[64:67], v47, s[14:15] offset:800
	buffer_load_dword v167, off, s[48:51], 0 offset:764 ; 4-byte Folded Reload
	v_mul_lo_u16 v0, v0, 52
	v_sub_nc_u16 v0, v168, v0
	v_lshlrev_b32_sdwa v103, v81, v0 dst_sel:DWORD dst_unused:UNUSED_PAD src0_sel:DWORD src1_sel:WORD_0
	global_load_dwordx4 v[88:91], v103, s[14:15] offset:800
	s_waitcnt vmcnt(1)
	v_mul_u32_u24_sdwa v68, v167, v24 dst_sel:DWORD dst_unused:UNUSED_PAD src0_sel:WORD_0 src1_sel:DWORD
	v_lshrrev_b32_e32 v0, 20, v68
	v_mul_lo_u16 v0, v0, 52
	v_sub_nc_u16 v0, v167, v0
	v_lshlrev_b32_sdwa v162, v81, v0 dst_sel:DWORD dst_unused:UNUSED_PAD src0_sel:DWORD src1_sel:WORD_0
	global_load_dwordx4 v[92:95], v162, s[14:15] offset:800
	ds_read_b128 v[12:15], v100 offset:9984
	ds_read_b128 v[8:11], v100 offset:10816
	;; [unrolled: 1-line block ×6, first 2 shown]
	buffer_load_dword v71, off, s[48:51], 0 offset:464 ; 4-byte Folded Reload
	s_waitcnt lgkmcnt(5)
	v_mul_f64 v[16:17], v[14:15], v[146:147]
	s_waitcnt lgkmcnt(4)
	v_mul_f64 v[22:23], v[10:11], v[146:147]
	v_mul_f64 v[20:21], v[8:9], v[146:147]
	s_waitcnt lgkmcnt(3)
	v_mul_f64 v[29:30], v[2:3], v[51:52]
	v_mul_f64 v[18:19], v[12:13], v[146:147]
	;; [unrolled: 1-line block ×3, first 2 shown]
	s_waitcnt lgkmcnt(1)
	v_mul_f64 v[39:40], v[27:28], v[84:85]
	v_mul_f64 v[41:42], v[25:26], v[84:85]
	s_waitcnt lgkmcnt(0)
	v_mul_f64 v[43:44], v[35:36], v[66:67]
	v_fma_f64 v[12:13], v[12:13], v[144:145], -v[16:17]
	v_fma_f64 v[16:17], v[8:9], v[144:145], -v[22:23]
	v_fma_f64 v[20:21], v[10:11], v[144:145], v[20:21]
	ds_read_b128 v[8:11], v100 offset:14976
	v_fma_f64 v[45:46], v[0:1], v[49:50], -v[29:30]
	buffer_store_dword v49, off, s[48:51], 0 offset:476 ; 4-byte Folded Spill
	buffer_store_dword v50, off, s[48:51], 0 offset:480 ; 4-byte Folded Spill
	;; [unrolled: 1-line block ×4, first 2 shown]
	v_fma_f64 v[14:15], v[14:15], v[144:145], v[18:19]
	v_mul_f64 v[18:19], v[6:7], v[55:56]
	v_mul_f64 v[22:23], v[4:5], v[55:56]
	v_fma_f64 v[75:76], v[25:26], v[82:83], -v[39:40]
	v_mul_f64 v[29:30], v[33:34], v[66:67]
	s_waitcnt vmcnt(0)
	v_mul_u32_u24_sdwa v31, v71, v24 dst_sel:DWORD dst_unused:UNUSED_PAD src0_sel:WORD_0 src1_sel:DWORD
	v_lshrrev_b32_e32 v0, 20, v31
	v_mul_lo_u16 v0, v0, 52
	v_sub_nc_u16 v31, v71, v0
	v_fma_f64 v[71:72], v[4:5], v[53:54], -v[18:19]
	buffer_store_dword v53, off, s[48:51], 0 offset:492 ; 4-byte Folded Spill
	buffer_store_dword v54, off, s[48:51], 0 offset:496 ; 4-byte Folded Spill
	buffer_store_dword v55, off, s[48:51], 0 offset:500 ; 4-byte Folded Spill
	buffer_store_dword v56, off, s[48:51], 0 offset:504 ; 4-byte Folded Spill
	s_waitcnt lgkmcnt(0)
	v_mul_f64 v[4:5], v[10:11], v[90:91]
	v_lshlrev_b32_sdwa v163, v81, v31 dst_sel:DWORD dst_unused:UNUSED_PAD src0_sel:DWORD src1_sel:WORD_0
	v_fma_f64 v[69:70], v[2:3], v[49:50], v[37:38]
	ds_read_b128 v[0:3], v100 offset:15808
	buffer_store_dword v82, off, s[48:51], 0 offset:524 ; 4-byte Folded Spill
	buffer_store_dword v83, off, s[48:51], 0 offset:528 ; 4-byte Folded Spill
	;; [unrolled: 1-line block ×4, first 2 shown]
	v_fma_f64 v[86:87], v[8:9], v[88:89], -v[4:5]
	s_waitcnt lgkmcnt(0)
	v_mul_f64 v[18:19], v[2:3], v[94:95]
	v_mul_f64 v[4:5], v[0:1], v[94:95]
	v_fma_f64 v[73:74], v[6:7], v[53:54], v[22:23]
	v_mul_f64 v[6:7], v[8:9], v[90:91]
	v_fma_f64 v[77:78], v[27:28], v[82:83], v[41:42]
	v_fma_f64 v[82:83], v[33:34], v[64:65], -v[43:44]
	buffer_store_dword v64, off, s[48:51], 0 offset:508 ; 4-byte Folded Spill
	buffer_store_dword v65, off, s[48:51], 0 offset:512 ; 4-byte Folded Spill
	;; [unrolled: 1-line block ×4, first 2 shown]
	buffer_load_dword v23, off, s[48:51], 0 offset:460 ; 4-byte Folded Reload
	global_load_dwordx4 v[25:28], v163, s[14:15] offset:800
	buffer_store_dword v88, off, s[48:51], 0 offset:540 ; 4-byte Folded Spill
	buffer_store_dword v89, off, s[48:51], 0 offset:544 ; 4-byte Folded Spill
	;; [unrolled: 1-line block ×4, first 2 shown]
	v_fma_f64 v[90:91], v[0:1], v[92:93], -v[18:19]
	buffer_store_dword v92, off, s[48:51], 0 offset:556 ; 4-byte Folded Spill
	buffer_store_dword v93, off, s[48:51], 0 offset:560 ; 4-byte Folded Spill
	;; [unrolled: 1-line block ×4, first 2 shown]
	v_fma_f64 v[84:85], v[35:36], v[64:65], v[29:30]
	v_fma_f64 v[88:89], v[10:11], v[88:89], v[6:7]
	s_waitcnt vmcnt(1)
	v_mul_u32_u24_sdwa v22, v23, v24 dst_sel:DWORD dst_unused:UNUSED_PAD src0_sel:WORD_0 src1_sel:DWORD
	v_fma_f64 v[92:93], v[2:3], v[92:93], v[4:5]
	v_lshrrev_b32_e32 v6, 20, v22
	v_mul_lo_u16 v6, v6, 52
	v_sub_nc_u16 v6, v23, v6
	v_lshlrev_b32_sdwa v164, v81, v6 dst_sel:DWORD dst_unused:UNUSED_PAD src0_sel:DWORD src1_sel:WORD_0
	global_load_dwordx4 v[33:36], v164, s[14:15] offset:800
	ds_read_b128 v[0:3], v100 offset:16640
	ds_read_b128 v[4:7], v100 offset:17472
	s_waitcnt vmcnt(1) lgkmcnt(1)
	v_mul_f64 v[8:9], v[2:3], v[27:28]
	v_fma_f64 v[94:95], v[0:1], v[25:26], -v[8:9]
	v_mul_f64 v[0:1], v[0:1], v[27:28]
	buffer_store_dword v25, off, s[48:51], 0 offset:604 ; 4-byte Folded Spill
	buffer_store_dword v26, off, s[48:51], 0 offset:608 ; 4-byte Folded Spill
	;; [unrolled: 1-line block ×4, first 2 shown]
	v_fma_f64 v[148:149], v[2:3], v[25:26], v[0:1]
	s_waitcnt vmcnt(0) lgkmcnt(0)
	v_mul_f64 v[0:1], v[6:7], v[35:36]
	v_fma_f64 v[150:151], v[4:5], v[33:34], -v[0:1]
	v_mul_f64 v[0:1], v[4:5], v[35:36]
	buffer_store_dword v33, off, s[48:51], 0 offset:620 ; 4-byte Folded Spill
	buffer_store_dword v34, off, s[48:51], 0 offset:624 ; 4-byte Folded Spill
	;; [unrolled: 1-line block ×4, first 2 shown]
	buffer_load_dword v2, off, s[48:51], 0 offset:452 ; 4-byte Folded Reload
	v_fma_f64 v[152:153], v[6:7], v[33:34], v[0:1]
	buffer_load_dword v1, off, s[48:51], 0 offset:456 ; 4-byte Folded Reload
	s_waitcnt vmcnt(0)
	v_mul_u32_u24_sdwa v0, v1, v24 dst_sel:DWORD dst_unused:UNUSED_PAD src0_sel:WORD_0 src1_sel:DWORD
	v_lshrrev_b32_e32 v0, 20, v0
	v_mul_lo_u16 v0, v0, 52
	v_sub_nc_u16 v0, v1, v0
	v_mul_u32_u24_sdwa v1, v2, v24 dst_sel:DWORD dst_unused:UNUSED_PAD src0_sel:WORD_0 src1_sel:DWORD
	v_lshlrev_b32_sdwa v166, v81, v0 dst_sel:DWORD dst_unused:UNUSED_PAD src0_sel:DWORD src1_sel:WORD_0
	v_lshrrev_b32_e32 v1, 20, v1
	v_mul_lo_u16 v1, v1, 52
	v_sub_nc_u16 v1, v2, v1
	v_lshlrev_b32_sdwa v165, v81, v1 dst_sel:DWORD dst_unused:UNUSED_PAD src0_sel:DWORD src1_sel:WORD_0
	s_clause 0x1
	global_load_dwordx4 v[26:29], v166, s[14:15] offset:800
	global_load_dwordx4 v[22:25], v165, s[14:15] offset:800
	ds_read_b128 v[0:3], v100 offset:18304
	ds_read_b128 v[4:7], v100 offset:19136
	s_waitcnt vmcnt(1) lgkmcnt(1)
	v_mul_f64 v[8:9], v[2:3], v[28:29]
	v_fma_f64 v[154:155], v[0:1], v[26:27], -v[8:9]
	v_mul_f64 v[0:1], v[0:1], v[28:29]
	buffer_store_dword v26, off, s[48:51], 0 offset:684 ; 4-byte Folded Spill
	buffer_store_dword v27, off, s[48:51], 0 offset:688 ; 4-byte Folded Spill
	;; [unrolled: 1-line block ×4, first 2 shown]
	v_fma_f64 v[156:157], v[2:3], v[26:27], v[0:1]
	s_waitcnt vmcnt(0) lgkmcnt(0)
	v_mul_f64 v[0:1], v[6:7], v[24:25]
	v_fma_f64 v[158:159], v[4:5], v[22:23], -v[0:1]
	v_mul_f64 v[0:1], v[4:5], v[24:25]
	buffer_store_dword v22, off, s[48:51], 0 offset:668 ; 4-byte Folded Spill
	buffer_store_dword v23, off, s[48:51], 0 offset:672 ; 4-byte Folded Spill
	;; [unrolled: 1-line block ×4, first 2 shown]
	v_fma_f64 v[160:161], v[6:7], v[22:23], v[0:1]
	ds_read_b128 v[0:3], v100
	ds_read_b128 v[4:7], v100 offset:832
	s_waitcnt lgkmcnt(1)
	v_add_f64 v[8:9], v[0:1], -v[12:13]
	v_add_f64 v[10:11], v[2:3], -v[14:15]
	s_waitcnt lgkmcnt(0)
	v_add_f64 v[12:13], v[4:5], -v[16:17]
	v_add_f64 v[14:15], v[6:7], -v[20:21]
	ds_read_b128 v[16:19], v100 offset:1664
	ds_read_b128 v[20:23], v100 offset:2496
	;; [unrolled: 1-line block ×10, first 2 shown]
	s_waitcnt lgkmcnt(0)
	s_waitcnt_vscnt null, 0x0
	s_barrier
	buffer_gl0_inv
	v_fma_f64 v[0:1], v[0:1], 2.0, -v[8:9]
	v_fma_f64 v[2:3], v[2:3], 2.0, -v[10:11]
	;; [unrolled: 1-line block ×4, first 2 shown]
	ds_write_b128 v100, v[8:11] offset:832
	ds_write_b128 v100, v[12:15] offset:2496
	ds_write_b128 v100, v[0:3]
	v_add_f64 v[0:1], v[16:17], -v[45:46]
	v_add_f64 v[2:3], v[18:19], -v[69:70]
	;; [unrolled: 1-line block ×14, first 2 shown]
	v_fma_f64 v[8:9], v[16:17], 2.0, -v[0:1]
	v_fma_f64 v[10:11], v[18:19], 2.0, -v[2:3]
	;; [unrolled: 1-line block ×4, first 2 shown]
	v_add_f64 v[20:21], v[24:25], -v[75:76]
	v_add_f64 v[22:23], v[26:27], -v[77:78]
	;; [unrolled: 1-line block ×6, first 2 shown]
	ds_write_b128 v100, v[4:7] offset:1664
	ds_write_b128 v79, v[0:3] offset:4160
	ds_write_b128 v59, v[12:15] offset:5824
	ds_write_b128 v57, v[20:23] offset:7488
	ds_write_b128 v47, v[69:72] offset:9152
	ds_write_b128 v103, v[73:76] offset:10816
	ds_write_b128 v162, v[82:85] offset:12480
	ds_write_b128 v163, v[86:89] offset:14144
	ds_write_b128 v164, v[90:93] offset:15808
	ds_write_b128 v166, v[148:151] offset:17472
	ds_write_b128 v165, v[152:155] offset:19136
	buffer_load_dword v0, off, s[48:51], 0 offset:468 ; 4-byte Folded Reload
	v_fma_f64 v[24:25], v[24:25], 2.0, -v[20:21]
	v_fma_f64 v[26:27], v[26:27], 2.0, -v[22:23]
	;; [unrolled: 1-line block ×16, first 2 shown]
	buffer_store_dword v79, off, s[48:51], 0 offset:464 ; 4-byte Folded Spill
	ds_write_b128 v79, v[8:11] offset:3328
	buffer_store_dword v59, off, s[48:51], 0 offset:460 ; 4-byte Folded Spill
	ds_write_b128 v59, v[16:19] offset:4992
	buffer_store_dword v57, off, s[48:51], 0 offset:456 ; 4-byte Folded Spill
	buffer_store_dword v47, off, s[48:51], 0 offset:452 ; 4-byte Folded Spill
	;; [unrolled: 1-line block ×3, first 2 shown]
	ds_write_b128 v57, v[24:27] offset:6656
	buffer_store_dword v162, off, s[48:51], 0 offset:472 ; 4-byte Folded Spill
	ds_write_b128 v47, v[28:31] offset:8320
	buffer_store_dword v163, off, s[48:51], 0 offset:572 ; 4-byte Folded Spill
	;; [unrolled: 2-line block ×5, first 2 shown]
	ds_write_b128 v164, v[49:52] offset:14976
	ds_write_b128 v166, v[53:56] offset:16640
	;; [unrolled: 1-line block ×3, first 2 shown]
	s_waitcnt vmcnt(0) lgkmcnt(0)
	s_waitcnt_vscnt null, 0x0
	s_barrier
	buffer_gl0_inv
	v_lshlrev_b32_e32 v0, 4, v0
	s_clause 0x1
	global_load_dwordx4 v[184:187], v0, s[14:15] offset:1632
	global_load_dwordx4 v[180:183], v0, s[14:15] offset:1648
	ds_read_b128 v[0:3], v100 offset:6656
	ds_read_b128 v[4:7], v100 offset:7488
	;; [unrolled: 1-line block ×4, first 2 shown]
	buffer_load_dword v103, off, s[48:51], 0 offset:1032 ; 4-byte Folded Reload
	s_waitcnt vmcnt(0)
	s_clause 0x1
	global_load_dwordx4 v[216:219], v103, s[14:15] offset:1632
	global_load_dwordx4 v[212:215], v103, s[14:15] offset:1648
	s_waitcnt lgkmcnt(3)
	v_mul_f64 v[12:13], v[2:3], v[186:187]
	v_mul_f64 v[18:19], v[0:1], v[186:187]
	v_fma_f64 v[34:35], v[0:1], v[184:185], -v[12:13]
	s_waitcnt lgkmcnt(1)
	v_mul_f64 v[0:1], v[10:11], v[182:183]
	v_fma_f64 v[40:41], v[2:3], v[184:185], v[18:19]
	v_mul_f64 v[2:3], v[8:9], v[182:183]
	v_fma_f64 v[42:43], v[8:9], v[180:181], -v[0:1]
	v_fma_f64 v[46:47], v[10:11], v[180:181], v[2:3]
	v_add_f64 v[90:91], v[40:41], -v[46:47]
	s_waitcnt vmcnt(1)
	v_mul_f64 v[0:1], v[6:7], v[218:219]
	v_fma_f64 v[12:13], v[4:5], v[216:217], -v[0:1]
	v_mul_f64 v[0:1], v[4:5], v[218:219]
	v_fma_f64 v[24:25], v[6:7], v[216:217], v[0:1]
	s_waitcnt vmcnt(0) lgkmcnt(0)
	v_mul_f64 v[0:1], v[16:17], v[214:215]
	v_fma_f64 v[26:27], v[14:15], v[212:213], -v[0:1]
	v_mul_f64 v[0:1], v[14:15], v[214:215]
	v_fma_f64 v[36:37], v[16:17], v[212:213], v[0:1]
	ds_read_b128 v[0:3], v100 offset:8320
	ds_read_b128 v[4:7], v100 offset:9152
	s_waitcnt lgkmcnt(1)
	v_mul_f64 v[8:9], v[2:3], v[186:187]
	v_fma_f64 v[8:9], v[0:1], v[184:185], -v[8:9]
	v_mul_f64 v[0:1], v[0:1], v[186:187]
	v_fma_f64 v[14:15], v[2:3], v[184:185], v[0:1]
	ds_read_b128 v[0:3], v100 offset:14976
	ds_read_b128 v[20:23], v100 offset:15808
	s_waitcnt lgkmcnt(1)
	v_mul_f64 v[10:11], v[2:3], v[182:183]
	v_fma_f64 v[28:29], v[0:1], v[180:181], -v[10:11]
	v_mul_f64 v[0:1], v[0:1], v[182:183]
	v_fma_f64 v[38:39], v[2:3], v[180:181], v[0:1]
	v_mul_f64 v[0:1], v[6:7], v[218:219]
	v_add_f64 v[94:95], v[14:15], -v[38:39]
	v_fma_f64 v[10:11], v[4:5], v[216:217], -v[0:1]
	v_mul_f64 v[0:1], v[4:5], v[218:219]
	v_fma_f64 v[16:17], v[6:7], v[216:217], v[0:1]
	s_waitcnt lgkmcnt(0)
	v_mul_f64 v[0:1], v[22:23], v[214:215]
	v_fma_f64 v[18:19], v[20:21], v[212:213], -v[0:1]
	v_mul_f64 v[0:1], v[20:21], v[214:215]
	v_fma_f64 v[30:31], v[22:23], v[212:213], v[0:1]
	v_lshrrev_b32_e32 v0, 21, v32
	v_mul_lo_u16 v0, 0x68, v0
	v_sub_nc_u16 v0, v170, v0
	v_lshlrev_b16 v1, 5, v0
	v_lshlrev_b32_sdwa v0, v81, v0 dst_sel:DWORD dst_unused:UNUSED_PAD src0_sel:DWORD src1_sel:WORD_0
	v_and_b32_e32 v1, 0xffff, v1
	v_add_co_u32 v1, s0, s14, v1
	v_add_co_ci_u32_e64 v2, null, s15, 0, s0
	s_clause 0x1
	global_load_dwordx4 v[64:67], v[1:2], off offset:1632
	global_load_dwordx4 v[52:55], v[1:2], off offset:1648
	ds_read_b128 v[1:4], v100 offset:9984
	ds_read_b128 v[20:23], v100 offset:10816
	s_waitcnt vmcnt(1) lgkmcnt(1)
	v_mul_f64 v[5:6], v[3:4], v[66:67]
	v_fma_f64 v[32:33], v[1:2], v[64:65], -v[5:6]
	v_mul_f64 v[1:2], v[1:2], v[66:67]
	buffer_store_dword v64, off, s[48:51], 0 offset:652 ; 4-byte Folded Spill
	buffer_store_dword v65, off, s[48:51], 0 offset:656 ; 4-byte Folded Spill
	;; [unrolled: 1-line block ×4, first 2 shown]
	v_fma_f64 v[44:45], v[3:4], v[64:65], v[1:2]
	ds_read_b128 v[1:4], v100 offset:16640
	ds_read_b128 v[64:67], v100 offset:17472
	s_waitcnt vmcnt(0) lgkmcnt(1)
	v_mul_f64 v[5:6], v[3:4], v[54:55]
	v_fma_f64 v[50:51], v[1:2], v[52:53], -v[5:6]
	v_mul_f64 v[1:2], v[1:2], v[54:55]
	buffer_store_dword v52, off, s[48:51], 0 offset:636 ; 4-byte Folded Spill
	buffer_store_dword v53, off, s[48:51], 0 offset:640 ; 4-byte Folded Spill
	;; [unrolled: 1-line block ×4, first 2 shown]
	v_fma_f64 v[54:55], v[3:4], v[52:53], v[1:2]
	v_lshrrev_b32_e32 v1, 21, v48
	v_mul_lo_u16 v1, 0x68, v1
	v_sub_nc_u16 v1, v169, v1
	v_lshlrev_b16 v2, 5, v1
	v_and_b32_e32 v2, 0xffff, v2
	v_add_co_u32 v2, s0, s14, v2
	v_add_co_ci_u32_e64 v3, null, s15, 0, s0
	s_clause 0x1
	global_load_dwordx4 v[69:72], v[2:3], off offset:1632
	global_load_dwordx4 v[4:7], v[2:3], off offset:1648
	s_waitcnt vmcnt(1)
	v_mul_f64 v[2:3], v[22:23], v[71:72]
	v_fma_f64 v[48:49], v[20:21], v[69:70], -v[2:3]
	v_mul_f64 v[2:3], v[20:21], v[71:72]
	buffer_store_dword v69, off, s[48:51], 0 offset:748 ; 4-byte Folded Spill
	buffer_store_dword v70, off, s[48:51], 0 offset:752 ; 4-byte Folded Spill
	buffer_store_dword v71, off, s[48:51], 0 offset:756 ; 4-byte Folded Spill
	buffer_store_dword v72, off, s[48:51], 0 offset:760 ; 4-byte Folded Spill
	v_fma_f64 v[56:57], v[22:23], v[69:70], v[2:3]
	s_waitcnt vmcnt(0) lgkmcnt(0)
	v_mul_f64 v[2:3], v[66:67], v[6:7]
	v_fma_f64 v[52:53], v[64:65], v[4:5], -v[2:3]
	v_mul_f64 v[2:3], v[64:65], v[6:7]
	buffer_store_dword v4, off, s[48:51], 0 offset:732 ; 4-byte Folded Spill
	buffer_store_dword v5, off, s[48:51], 0 offset:736 ; 4-byte Folded Spill
	;; [unrolled: 1-line block ×4, first 2 shown]
	v_fma_f64 v[64:65], v[66:67], v[4:5], v[2:3]
	v_lshrrev_b32_e32 v2, 21, v58
	v_mul_lo_u16 v2, 0x68, v2
	v_sub_nc_u16 v2, v168, v2
	v_lshlrev_b16 v3, 5, v2
	v_and_b32_e32 v3, 0xffff, v3
	v_add_co_u32 v3, s0, s14, v3
	v_add_co_ci_u32_e64 v4, null, s15, 0, s0
	s_clause 0x1
	global_load_dwordx4 v[69:72], v[3:4], off offset:1632
	global_load_dwordx4 v[86:89], v[3:4], off offset:1648
	ds_read_b128 v[3:6], v100 offset:11648
	ds_read_b128 v[74:77], v100 offset:12480
	s_waitcnt vmcnt(1) lgkmcnt(1)
	v_mul_f64 v[20:21], v[5:6], v[71:72]
	v_fma_f64 v[58:59], v[3:4], v[69:70], -v[20:21]
	v_mul_f64 v[3:4], v[3:4], v[71:72]
	buffer_store_dword v69, off, s[48:51], 0 offset:716 ; 4-byte Folded Spill
	buffer_store_dword v70, off, s[48:51], 0 offset:720 ; 4-byte Folded Spill
	;; [unrolled: 1-line block ×4, first 2 shown]
	v_fma_f64 v[66:67], v[5:6], v[69:70], v[3:4]
	ds_read_b128 v[3:6], v100 offset:18304
	ds_read_b128 v[82:85], v100 offset:19136
	s_waitcnt vmcnt(0) lgkmcnt(1)
	v_mul_f64 v[20:21], v[5:6], v[88:89]
	v_fma_f64 v[70:71], v[3:4], v[86:87], -v[20:21]
	v_mul_f64 v[3:4], v[3:4], v[88:89]
	buffer_store_dword v86, off, s[48:51], 0 offset:700 ; 4-byte Folded Spill
	buffer_store_dword v87, off, s[48:51], 0 offset:704 ; 4-byte Folded Spill
	;; [unrolled: 1-line block ×4, first 2 shown]
	v_fma_f64 v[72:73], v[5:6], v[86:87], v[3:4]
	v_lshrrev_b32_e32 v3, 21, v68
	v_add_f64 v[6:7], v[40:41], v[46:47]
	v_mul_lo_u16 v3, 0x68, v3
	v_sub_nc_u16 v3, v167, v3
	v_lshlrev_b16 v4, 5, v3
	v_and_b32_e32 v4, 0xffff, v4
	v_add_co_u32 v4, s0, s14, v4
	v_add_co_ci_u32_e64 v5, null, s15, 0, s0
	s_clause 0x1
	global_load_dwordx4 v[86:89], v[4:5], off offset:1632
	global_load_dwordx4 v[20:23], v[4:5], off offset:1648
	s_mov_b32 s0, 0xe8584caa
	s_mov_b32 s1, 0x3febb67a
	;; [unrolled: 1-line block ×3, first 2 shown]
	s_waitcnt vmcnt(1)
	v_mul_f64 v[4:5], v[76:77], v[88:89]
	v_fma_f64 v[68:69], v[74:75], v[86:87], -v[4:5]
	v_mul_f64 v[4:5], v[74:75], v[88:89]
	buffer_store_dword v86, off, s[48:51], 0 offset:828 ; 4-byte Folded Spill
	buffer_store_dword v87, off, s[48:51], 0 offset:832 ; 4-byte Folded Spill
	;; [unrolled: 1-line block ×4, first 2 shown]
	v_fma_f64 v[74:75], v[76:77], v[86:87], v[4:5]
	s_waitcnt vmcnt(0) lgkmcnt(0)
	v_mul_f64 v[4:5], v[84:85], v[22:23]
	v_fma_f64 v[76:77], v[82:83], v[20:21], -v[4:5]
	v_mul_f64 v[4:5], v[82:83], v[22:23]
	buffer_store_dword v20, off, s[48:51], 0 offset:764 ; 4-byte Folded Spill
	buffer_store_dword v21, off, s[48:51], 0 offset:768 ; 4-byte Folded Spill
	;; [unrolled: 1-line block ×4, first 2 shown]
	v_fma_f64 v[78:79], v[84:85], v[20:21], v[4:5]
	v_add_f64 v[4:5], v[34:35], v[42:43]
	ds_read_b128 v[82:85], v100
	ds_read_b128 v[86:89], v100 offset:832
	ds_read_b128 v[148:151], v100 offset:1664
	ds_read_b128 v[152:155], v100 offset:2496
	s_waitcnt lgkmcnt(3)
	v_fma_f64 v[6:7], v[6:7], -0.5, v[84:85]
	v_add_f64 v[84:85], v[84:85], v[40:41]
	v_fma_f64 v[4:5], v[4:5], -0.5, v[82:83]
	v_add_f64 v[82:83], v[82:83], v[34:35]
	v_add_f64 v[34:35], v[34:35], -v[42:43]
	v_add_f64 v[84:85], v[84:85], v[46:47]
	v_fma_f64 v[40:41], v[90:91], s[0:1], v[4:5]
	v_add_f64 v[82:83], v[82:83], v[42:43]
	v_fma_f64 v[90:91], v[90:91], s[4:5], v[4:5]
	v_fma_f64 v[42:43], v[34:35], s[4:5], v[6:7]
	;; [unrolled: 1-line block ×3, first 2 shown]
	v_add_f64 v[4:5], v[12:13], v[26:27]
	v_add_f64 v[6:7], v[24:25], v[36:37]
	s_waitcnt lgkmcnt(2)
	v_add_f64 v[34:35], v[88:89], v[24:25]
	v_add_f64 v[46:47], v[86:87], v[12:13]
	v_add_f64 v[12:13], v[12:13], -v[26:27]
	v_fma_f64 v[4:5], v[4:5], -0.5, v[86:87]
	v_fma_f64 v[6:7], v[6:7], -0.5, v[88:89]
	v_add_f64 v[86:87], v[24:25], -v[36:37]
	v_add_f64 v[36:37], v[34:35], v[36:37]
	v_add_f64 v[34:35], v[46:47], v[26:27]
	s_waitcnt lgkmcnt(1)
	v_add_f64 v[46:47], v[148:149], v[8:9]
	v_fma_f64 v[26:27], v[12:13], s[4:5], v[6:7]
	v_fma_f64 v[24:25], v[86:87], s[0:1], v[4:5]
	;; [unrolled: 1-line block ×4, first 2 shown]
	v_add_f64 v[4:5], v[8:9], v[28:29]
	v_add_f64 v[6:7], v[14:15], v[38:39]
	;; [unrolled: 1-line block ×3, first 2 shown]
	v_add_f64 v[8:9], v[8:9], -v[28:29]
	v_fma_f64 v[4:5], v[4:5], -0.5, v[148:149]
	v_fma_f64 v[6:7], v[6:7], -0.5, v[150:151]
	v_add_f64 v[14:15], v[12:13], v[38:39]
	v_add_f64 v[12:13], v[46:47], v[28:29]
	s_waitcnt lgkmcnt(0)
	v_add_f64 v[28:29], v[152:153], v[10:11]
	v_fma_f64 v[148:149], v[94:95], s[0:1], v[4:5]
	v_fma_f64 v[156:157], v[94:95], s[4:5], v[4:5]
	;; [unrolled: 1-line block ×4, first 2 shown]
	v_add_f64 v[4:5], v[10:11], v[18:19]
	v_add_f64 v[6:7], v[16:17], v[30:31]
	;; [unrolled: 1-line block ×3, first 2 shown]
	v_add_f64 v[16:17], v[16:17], -v[30:31]
	v_add_f64 v[28:29], v[28:29], v[18:19]
	v_add_f64 v[18:19], v[10:11], -v[18:19]
	v_fma_f64 v[4:5], v[4:5], -0.5, v[152:153]
	v_fma_f64 v[6:7], v[6:7], -0.5, v[154:155]
	v_add_f64 v[30:31], v[8:9], v[30:31]
	ds_read_b128 v[152:155], v100 offset:3328
	ds_read_b128 v[160:163], v100 offset:4160
	;; [unrolled: 1-line block ×4, first 2 shown]
	s_waitcnt lgkmcnt(0)
	s_waitcnt_vscnt null, 0x0
	s_barrier
	buffer_gl0_inv
	v_fma_f64 v[8:9], v[16:17], s[0:1], v[4:5]
	v_fma_f64 v[16:17], v[16:17], s[4:5], v[4:5]
	v_fma_f64 v[10:11], v[18:19], s[4:5], v[6:7]
	v_fma_f64 v[18:19], v[18:19], s[0:1], v[6:7]
	v_add_f64 v[4:5], v[32:33], v[50:51]
	v_add_f64 v[6:7], v[44:45], v[54:55]
	;; [unrolled: 1-line block ×4, first 2 shown]
	v_add_f64 v[32:33], v[32:33], -v[50:51]
	ds_write_b128 v100, v[82:85]
	ds_write_b128 v100, v[34:37] offset:832
	ds_write_b128 v100, v[12:15] offset:4992
	;; [unrolled: 1-line block ×11, first 2 shown]
	v_fma_f64 v[4:5], v[4:5], -0.5, v[152:153]
	v_fma_f64 v[6:7], v[6:7], -0.5, v[154:155]
	v_add_f64 v[154:155], v[44:45], -v[54:55]
	v_add_f64 v[44:45], v[94:95], v[50:51]
	v_add_f64 v[50:51], v[56:57], -v[64:65]
	v_add_f64 v[46:47], v[38:39], v[54:55]
	v_add_f64 v[38:39], v[160:161], v[48:49]
	v_fma_f64 v[166:167], v[32:33], s[0:1], v[6:7]
	v_fma_f64 v[152:153], v[154:155], s[0:1], v[4:5]
	;; [unrolled: 1-line block ×4, first 2 shown]
	v_add_f64 v[4:5], v[48:49], v[52:53]
	v_add_f64 v[6:7], v[56:57], v[64:65]
	;; [unrolled: 1-line block ×5, first 2 shown]
	ds_write_b128 v0, v[44:47] offset:9984
	ds_write_b128 v0, v[152:155] offset:11648
	buffer_store_dword v0, off, s[48:51], 0 offset:920 ; 4-byte Folded Spill
	v_fma_f64 v[4:5], v[4:5], -0.5, v[160:161]
	v_fma_f64 v[6:7], v[6:7], -0.5, v[162:163]
	v_add_f64 v[56:57], v[32:33], v[64:65]
	v_add_f64 v[32:33], v[48:49], -v[52:53]
	v_add_f64 v[52:53], v[66:67], -v[72:73]
	v_add_f64 v[64:65], v[38:39], v[70:71]
	v_add_f64 v[38:39], v[172:173], v[68:69]
	ds_write_b128 v0, v[164:167] offset:13312
	v_lshlrev_b32_sdwa v0, v81, v1 dst_sel:DWORD dst_unused:UNUSED_PAD src0_sel:DWORD src1_sel:WORD_0
	v_fma_f64 v[48:49], v[50:51], s[0:1], v[4:5]
	v_fma_f64 v[160:161], v[50:51], s[4:5], v[4:5]
	v_add_f64 v[4:5], v[58:59], v[70:71]
	v_fma_f64 v[50:51], v[32:33], s[4:5], v[6:7]
	v_fma_f64 v[162:163], v[32:33], s[0:1], v[6:7]
	v_add_f64 v[6:7], v[66:67], v[72:73]
	v_add_f64 v[32:33], v[170:171], v[66:67]
	ds_write_b128 v0, v[54:57] offset:9984
	ds_write_b128 v0, v[48:51] offset:11648
	v_fma_f64 v[4:5], v[4:5], -0.5, v[168:169]
	buffer_store_dword v0, off, s[48:51], 0 offset:916 ; 4-byte Folded Spill
	v_fma_f64 v[6:7], v[6:7], -0.5, v[170:171]
	v_add_f64 v[66:67], v[32:33], v[72:73]
	v_add_f64 v[32:33], v[58:59], -v[70:71]
	ds_write_b128 v0, v[160:163] offset:13312
	v_lshlrev_b32_sdwa v0, v81, v2 dst_sel:DWORD dst_unused:UNUSED_PAD src0_sel:DWORD src1_sel:WORD_0
	v_fma_f64 v[70:71], v[52:53], s[0:1], v[4:5]
	v_fma_f64 v[168:169], v[52:53], s[4:5], v[4:5]
	v_add_f64 v[4:5], v[68:69], v[76:77]
	v_add_f64 v[52:53], v[74:75], -v[78:79]
	v_fma_f64 v[72:73], v[32:33], s[4:5], v[6:7]
	v_fma_f64 v[170:171], v[32:33], s[0:1], v[6:7]
	v_add_f64 v[6:7], v[74:75], v[78:79]
	v_add_f64 v[32:33], v[174:175], v[74:75]
	ds_write_b128 v0, v[64:67] offset:14976
	ds_write_b128 v0, v[70:73] offset:16640
	v_fma_f64 v[4:5], v[4:5], -0.5, v[172:173]
	v_add_f64 v[172:173], v[38:39], v[76:77]
	v_fma_f64 v[6:7], v[6:7], -0.5, v[174:175]
	v_add_f64 v[174:175], v[32:33], v[78:79]
	v_add_f64 v[32:33], v[68:69], -v[76:77]
	buffer_store_dword v0, off, s[48:51], 0 offset:912 ; 4-byte Folded Spill
	ds_write_b128 v0, v[168:171] offset:18304
	v_lshlrev_b32_sdwa v0, v81, v3 dst_sel:DWORD dst_unused:UNUSED_PAD src0_sel:DWORD src1_sel:WORD_0
	v_fma_f64 v[176:177], v[52:53], s[4:5], v[4:5]
	v_fma_f64 v[74:75], v[52:53], s[0:1], v[4:5]
	;; [unrolled: 1-line block ×4, first 2 shown]
	ds_write_b128 v0, v[172:175] offset:14976
	ds_write_b128 v0, v[74:77] offset:16640
	buffer_store_dword v0, off, s[48:51], 0 offset:908 ; 4-byte Folded Spill
	ds_write_b128 v0, v[176:179] offset:18304
	v_add_co_u32 v0, s0, s14, v80
	v_add_co_ci_u32_e64 v1, null, s15, 0, s0
	s_waitcnt lgkmcnt(0)
	s_waitcnt_vscnt null, 0x0
	v_add_co_u32 v2, s0, 0x1000, v0
	v_add_co_ci_u32_e64 v3, s0, 0, v1, s0
	s_barrier
	buffer_gl0_inv
	s_clause 0x1
	global_load_dwordx4 v[188:191], v[2:3], off offset:864
	global_load_dwordx4 v[208:211], v[2:3], off offset:1696
	ds_read_b128 v[8:11], v100 offset:9984
	ds_read_b128 v[12:15], v100 offset:10816
	s_add_u32 s4, s12, 0x4e00
	s_addc_u32 s5, s13, 0
	s_waitcnt vmcnt(1) lgkmcnt(1)
	v_mul_f64 v[2:3], v[10:11], v[190:191]
	v_mul_f64 v[4:5], v[8:9], v[190:191]
	s_waitcnt vmcnt(0) lgkmcnt(0)
	v_mul_f64 v[6:7], v[14:15], v[210:211]
	v_fma_f64 v[2:3], v[8:9], v[188:189], -v[2:3]
	v_mul_f64 v[8:9], v[12:13], v[210:211]
	v_fma_f64 v[4:5], v[10:11], v[188:189], v[4:5]
	v_fma_f64 v[6:7], v[12:13], v[208:209], -v[6:7]
	v_fma_f64 v[18:19], v[14:15], v[208:209], v[8:9]
	v_add_co_u32 v8, s0, 0x1800, v0
	v_add_co_ci_u32_e64 v9, s0, 0, v1, s0
	s_clause 0x1
	global_load_dwordx4 v[204:207], v[8:9], off offset:480
	global_load_dwordx4 v[200:203], v[8:9], off offset:1312
	ds_read_b128 v[8:11], v100 offset:11648
	ds_read_b128 v[12:15], v100 offset:12480
	s_waitcnt vmcnt(1) lgkmcnt(1)
	v_mul_f64 v[16:17], v[10:11], v[206:207]
	v_fma_f64 v[40:41], v[8:9], v[204:205], -v[16:17]
	v_mul_f64 v[8:9], v[8:9], v[206:207]
	v_fma_f64 v[42:43], v[10:11], v[204:205], v[8:9]
	s_waitcnt vmcnt(0) lgkmcnt(0)
	v_mul_f64 v[8:9], v[14:15], v[202:203]
	v_fma_f64 v[44:45], v[12:13], v[200:201], -v[8:9]
	v_mul_f64 v[8:9], v[12:13], v[202:203]
	v_fma_f64 v[46:47], v[14:15], v[200:201], v[8:9]
	v_add_co_u32 v8, s0, 0x2000, v0
	v_add_co_ci_u32_e64 v9, s0, 0, v1, s0
	s_clause 0x1
	global_load_dwordx4 v[196:199], v[8:9], off offset:96
	global_load_dwordx4 v[192:195], v[8:9], off offset:928
	ds_read_b128 v[10:13], v100 offset:13312
	ds_read_b128 v[14:17], v100 offset:14144
	s_waitcnt vmcnt(1) lgkmcnt(1)
	v_mul_f64 v[24:25], v[12:13], v[198:199]
	v_fma_f64 v[56:57], v[10:11], v[196:197], -v[24:25]
	v_mul_f64 v[10:11], v[10:11], v[198:199]
	v_fma_f64 v[58:59], v[12:13], v[196:197], v[10:11]
	s_waitcnt vmcnt(0) lgkmcnt(0)
	v_mul_f64 v[10:11], v[16:17], v[194:195]
	v_fma_f64 v[64:65], v[14:15], v[192:193], -v[10:11]
	v_mul_f64 v[10:11], v[14:15], v[194:195]
	v_fma_f64 v[66:67], v[16:17], v[192:193], v[10:11]
	ds_read_b128 v[10:13], v100 offset:14976
	ds_read_b128 v[14:17], v100 offset:15808
	s_waitcnt lgkmcnt(1)
	v_mul_f64 v[24:25], v[12:13], v[190:191]
	v_fma_f64 v[76:77], v[10:11], v[188:189], -v[24:25]
	v_mul_f64 v[10:11], v[10:11], v[190:191]
	v_fma_f64 v[78:79], v[12:13], v[188:189], v[10:11]
	s_waitcnt lgkmcnt(0)
	v_mul_f64 v[10:11], v[16:17], v[210:211]
	v_fma_f64 v[81:82], v[14:15], v[208:209], -v[10:11]
	v_mul_f64 v[10:11], v[14:15], v[210:211]
	v_fma_f64 v[83:84], v[16:17], v[208:209], v[10:11]
	ds_read_b128 v[10:13], v100 offset:16640
	ds_read_b128 v[14:17], v100 offset:17472
	s_waitcnt lgkmcnt(1)
	v_mul_f64 v[24:25], v[12:13], v[206:207]
	v_fma_f64 v[93:94], v[10:11], v[204:205], -v[24:25]
	v_mul_f64 v[10:11], v[10:11], v[206:207]
	v_fma_f64 v[150:151], v[12:13], v[204:205], v[10:11]
	s_waitcnt lgkmcnt(0)
	;; [unrolled: 12-line block ×3, first 2 shown]
	v_mul_f64 v[10:11], v[16:17], v[194:195]
	v_fma_f64 v[168:169], v[14:15], v[192:193], -v[10:11]
	v_mul_f64 v[10:11], v[14:15], v[194:195]
	v_fma_f64 v[170:171], v[16:17], v[192:193], v[10:11]
	ds_read_b128 v[10:13], v100
	ds_read_b128 v[14:17], v100 offset:832
	ds_read_b128 v[32:35], v100 offset:1664
	;; [unrolled: 1-line block ×11, first 2 shown]
	s_waitcnt lgkmcnt(0)
	s_barrier
	buffer_gl0_inv
	v_add_f64 v[24:25], v[10:11], -v[2:3]
	v_add_f64 v[26:27], v[12:13], -v[4:5]
	;; [unrolled: 1-line block ×24, first 2 shown]
	v_fma_f64 v[10:11], v[10:11], 2.0, -v[24:25]
	v_fma_f64 v[12:13], v[12:13], 2.0, -v[26:27]
	;; [unrolled: 1-line block ×10, first 2 shown]
	v_add_co_u32 v2, s0, 0x2800, v0
	v_fma_f64 v[52:53], v[52:53], 2.0, -v[64:65]
	v_fma_f64 v[54:55], v[54:55], 2.0, -v[66:67]
	;; [unrolled: 1-line block ×4, first 2 shown]
	v_add_co_ci_u32_e64 v3, s0, 0, v1, s0
	v_fma_f64 v[72:73], v[72:73], 2.0, -v[81:82]
	v_fma_f64 v[74:75], v[74:75], 2.0, -v[83:84]
	;; [unrolled: 1-line block ×10, first 2 shown]
	ds_write_b128 v100, v[24:27] offset:4992
	ds_write_b128 v100, v[28:31] offset:5824
	ds_write_b128 v100, v[40:43] offset:6656
	ds_write_b128 v100, v[44:47] offset:7488
	ds_write_b128 v100, v[56:59] offset:8320
	ds_write_b128 v100, v[64:67] offset:9152
	ds_write_b128 v100, v[76:79] offset:14976
	ds_write_b128 v100, v[81:84] offset:15808
	ds_write_b128 v100, v[148:151] offset:16640
	ds_write_b128 v100, v[152:155] offset:17472
	ds_write_b128 v100, v[164:167] offset:18304
	ds_write_b128 v100, v[168:171] offset:19136
	ds_write_b128 v100, v[10:13]
	ds_write_b128 v100, v[14:17] offset:832
	ds_write_b128 v100, v[32:35] offset:1664
	;; [unrolled: 1-line block ×11, first 2 shown]
	s_waitcnt lgkmcnt(0)
	s_barrier
	buffer_gl0_inv
	s_clause 0x1
	global_load_dwordx4 v[20:23], v[8:9], off offset:1760
	global_load_dwordx4 v[16:19], v[2:3], off offset:544
	ds_read_b128 v[8:11], v100 offset:9984
	ds_read_b128 v[12:15], v100 offset:10816
	s_waitcnt vmcnt(1) lgkmcnt(1)
	v_mul_f64 v[4:5], v[10:11], v[22:23]
	v_mul_f64 v[6:7], v[8:9], v[22:23]
	v_fma_f64 v[4:5], v[8:9], v[20:21], -v[4:5]
	s_waitcnt vmcnt(0) lgkmcnt(0)
	v_mul_f64 v[8:9], v[14:15], v[18:19]
	buffer_store_dword v20, off, s[48:51], 0 offset:876 ; 4-byte Folded Spill
	buffer_store_dword v21, off, s[48:51], 0 offset:880 ; 4-byte Folded Spill
	;; [unrolled: 1-line block ×4, first 2 shown]
	v_fma_f64 v[72:73], v[12:13], v[16:17], -v[8:9]
	v_mul_f64 v[8:9], v[12:13], v[18:19]
	buffer_store_dword v16, off, s[48:51], 0 offset:844 ; 4-byte Folded Spill
	buffer_store_dword v17, off, s[48:51], 0 offset:848 ; 4-byte Folded Spill
	;; [unrolled: 1-line block ×4, first 2 shown]
	v_fma_f64 v[6:7], v[10:11], v[20:21], v[6:7]
	v_fma_f64 v[74:75], v[14:15], v[16:17], v[8:9]
	v_add_co_u32 v16, s0, 0x3000, v0
	v_add_co_ci_u32_e64 v17, s0, 0, v1, s0
	s_clause 0x1
	global_load_dwordx4 v[22:25], v[2:3], off offset:1376
	global_load_dwordx4 v[18:21], v[16:17], off offset:160
	ds_read_b128 v[8:11], v100 offset:11648
	ds_read_b128 v[12:15], v100 offset:12480
	s_waitcnt vmcnt(1) lgkmcnt(1)
	v_mul_f64 v[2:3], v[10:11], v[24:25]
	v_fma_f64 v[85:86], v[8:9], v[22:23], -v[2:3]
	v_mul_f64 v[2:3], v[8:9], v[24:25]
	buffer_store_dword v22, off, s[48:51], 0 offset:892 ; 4-byte Folded Spill
	buffer_store_dword v23, off, s[48:51], 0 offset:896 ; 4-byte Folded Spill
	;; [unrolled: 1-line block ×4, first 2 shown]
	v_fma_f64 v[8:9], v[10:11], v[22:23], v[2:3]
	s_waitcnt vmcnt(0) lgkmcnt(0)
	v_mul_f64 v[2:3], v[14:15], v[20:21]
	v_fma_f64 v[10:11], v[12:13], v[18:19], -v[2:3]
	v_mul_f64 v[2:3], v[12:13], v[20:21]
	buffer_store_dword v18, off, s[48:51], 0 offset:860 ; 4-byte Folded Spill
	buffer_store_dword v19, off, s[48:51], 0 offset:864 ; 4-byte Folded Spill
	;; [unrolled: 1-line block ×4, first 2 shown]
	v_fma_f64 v[91:92], v[14:15], v[18:19], v[2:3]
	s_clause 0x1
	global_load_dwordx4 v[12:15], v[16:17], off offset:992
	global_load_dwordx4 v[20:23], v[16:17], off offset:1824
	ds_read_b128 v[16:19], v100 offset:13312
	ds_read_b128 v[40:43], v100 offset:14144
	s_waitcnt vmcnt(1) lgkmcnt(1)
	v_mul_f64 v[2:3], v[18:19], v[14:15]
	v_fma_f64 v[93:94], v[16:17], v[12:13], -v[2:3]
	v_mul_f64 v[2:3], v[16:17], v[14:15]
	buffer_store_dword v12, off, s[48:51], 0 offset:780 ; 4-byte Folded Spill
	buffer_store_dword v13, off, s[48:51], 0 offset:784 ; 4-byte Folded Spill
	;; [unrolled: 1-line block ×4, first 2 shown]
	v_fma_f64 v[158:159], v[18:19], v[12:13], v[2:3]
	s_waitcnt vmcnt(0) lgkmcnt(0)
	v_mul_f64 v[2:3], v[42:43], v[22:23]
	v_fma_f64 v[160:161], v[40:41], v[20:21], -v[2:3]
	v_mul_f64 v[2:3], v[40:41], v[22:23]
	buffer_store_dword v20, off, s[48:51], 0 offset:796 ; 4-byte Folded Spill
	buffer_store_dword v21, off, s[48:51], 0 offset:800 ; 4-byte Folded Spill
	;; [unrolled: 1-line block ×4, first 2 shown]
	v_fma_f64 v[162:163], v[42:43], v[20:21], v[2:3]
	v_add_co_u32 v2, s0, 0x3800, v0
	v_add_co_ci_u32_e64 v3, s0, 0, v1, s0
	s_clause 0x1
	global_load_dwordx4 v[12:15], v[2:3], off offset:608
	global_load_dwordx4 v[40:43], v[2:3], off offset:1440
	ds_read_b128 v[44:47], v100 offset:14976
	ds_read_b128 v[48:51], v100 offset:15808
	s_waitcnt vmcnt(1) lgkmcnt(1)
	v_mul_f64 v[2:3], v[46:47], v[14:15]
	v_fma_f64 v[172:173], v[44:45], v[12:13], -v[2:3]
	v_mul_f64 v[2:3], v[44:45], v[14:15]
	buffer_store_dword v12, off, s[48:51], 0 offset:812 ; 4-byte Folded Spill
	buffer_store_dword v13, off, s[48:51], 0 offset:816 ; 4-byte Folded Spill
	;; [unrolled: 1-line block ×4, first 2 shown]
	v_fma_f64 v[174:175], v[46:47], v[12:13], v[2:3]
	s_waitcnt vmcnt(0) lgkmcnt(0)
	v_mul_f64 v[2:3], v[50:51], v[42:43]
	v_fma_f64 v[176:177], v[48:49], v[40:41], -v[2:3]
	v_mul_f64 v[2:3], v[48:49], v[42:43]
	v_fma_f64 v[178:179], v[50:51], v[40:41], v[2:3]
	v_add_co_u32 v2, s0, 0x4000, v0
	v_add_co_ci_u32_e64 v3, s0, 0, v1, s0
	s_clause 0x1
	global_load_dwordx4 v[44:47], v[2:3], off offset:224
	global_load_dwordx4 v[48:51], v[2:3], off offset:1056
	ds_read_b128 v[52:55], v100 offset:16640
	ds_read_b128 v[56:59], v100 offset:17472
	v_add_co_u32 v0, s0, 0x4800, v0
	v_add_co_ci_u32_e64 v1, s0, 0, v1, s0
	s_waitcnt vmcnt(1) lgkmcnt(1)
	v_mul_f64 v[64:65], v[54:55], v[46:47]
	v_fma_f64 v[228:229], v[52:53], v[44:45], -v[64:65]
	v_mul_f64 v[52:53], v[52:53], v[46:47]
	v_fma_f64 v[230:231], v[54:55], v[44:45], v[52:53]
	s_waitcnt vmcnt(0) lgkmcnt(0)
	v_mul_f64 v[52:53], v[58:59], v[50:51]
	v_fma_f64 v[232:233], v[56:57], v[48:49], -v[52:53]
	v_mul_f64 v[52:53], v[56:57], v[50:51]
	v_fma_f64 v[234:235], v[58:59], v[48:49], v[52:53]
	s_clause 0x1
	global_load_dwordx4 v[56:59], v[2:3], off offset:1888
	global_load_dwordx4 v[52:55], v[0:1], off offset:672
	ds_read_b128 v[0:3], v100 offset:18304
	ds_read_b128 v[64:67], v100 offset:19136
	s_waitcnt vmcnt(1) lgkmcnt(1)
	v_mul_f64 v[68:69], v[2:3], v[58:59]
	v_fma_f64 v[244:245], v[0:1], v[56:57], -v[68:69]
	v_mul_f64 v[0:1], v[0:1], v[58:59]
	v_fma_f64 v[246:247], v[2:3], v[56:57], v[0:1]
	s_waitcnt vmcnt(0) lgkmcnt(0)
	v_mul_f64 v[0:1], v[66:67], v[54:55]
	v_fma_f64 v[248:249], v[64:65], v[52:53], -v[0:1]
	v_mul_f64 v[0:1], v[64:65], v[54:55]
	v_fma_f64 v[250:251], v[66:67], v[52:53], v[0:1]
	ds_read_b128 v[0:3], v100
	ds_read_b128 v[64:67], v100 offset:832
	ds_read_b128 v[76:79], v100 offset:1664
	;; [unrolled: 1-line block ×11, first 2 shown]
	s_waitcnt lgkmcnt(11)
	v_add_f64 v[68:69], v[0:1], -v[4:5]
	v_add_f64 v[70:71], v[2:3], -v[6:7]
	s_waitcnt lgkmcnt(10)
	v_add_f64 v[72:73], v[64:65], -v[72:73]
	v_add_f64 v[74:75], v[66:67], -v[74:75]
	;; [unrolled: 3-line block ×12, first 2 shown]
	v_fma_f64 v[0:1], v[0:1], 2.0, -v[68:69]
	v_fma_f64 v[2:3], v[2:3], 2.0, -v[70:71]
	;; [unrolled: 1-line block ×24, first 2 shown]
	ds_write_b128 v100, v[68:71] offset:9984
	ds_write_b128 v100, v[72:75] offset:10816
	;; [unrolled: 1-line block ×12, first 2 shown]
	ds_write_b128 v100, v[0:3]
	ds_write_b128 v100, v[64:67] offset:832
	ds_write_b128 v100, v[76:79] offset:1664
	;; [unrolled: 1-line block ×11, first 2 shown]
	s_waitcnt lgkmcnt(0)
	s_waitcnt_vscnt null, 0x0
	s_barrier
	buffer_gl0_inv
	buffer_load_dword v0, off, s[48:51], 0 offset:976 ; 4-byte Folded Reload
	s_waitcnt vmcnt(0)
	s_clause 0x1
	global_load_dwordx4 v[154:157], v0, s[4:5]
	global_load_dwordx4 v[0:3], v80, s[4:5]
	ds_read_b128 v[64:67], v100
	ds_read_b128 v[72:75], v100 offset:832
	ds_read_b128 v[68:71], v100 offset:9984
	;; [unrolled: 1-line block ×3, first 2 shown]
	s_waitcnt vmcnt(0) lgkmcnt(3)
	v_mul_f64 v[4:5], v[66:67], v[2:3]
	v_mul_f64 v[2:3], v[64:65], v[2:3]
	v_fma_f64 v[64:65], v[64:65], v[0:1], -v[4:5]
	v_fma_f64 v[66:67], v[66:67], v[0:1], v[2:3]
	v_add_co_u32 v0, s0, s4, v80
	v_add_co_ci_u32_e64 v1, null, s5, 0, s0
	v_add_co_u32 v164, s0, 0x2000, v0
	v_add_co_ci_u32_e64 v165, s0, 0, v1, s0
	v_add_co_u32 v2, s0, 0x2800, v0
	v_add_co_ci_u32_e64 v3, s0, 0, v1, s0
	s_clause 0x1
	global_load_dwordx4 v[76:79], v[164:165], off offset:1792
	global_load_dwordx4 v[81:84], v[2:3], off offset:576
	s_waitcnt vmcnt(1) lgkmcnt(1)
	v_mul_f64 v[4:5], v[70:71], v[78:79]
	v_mul_f64 v[6:7], v[68:69], v[78:79]
	v_fma_f64 v[68:69], v[68:69], v[76:77], -v[4:5]
	v_fma_f64 v[70:71], v[70:71], v[76:77], v[6:7]
	s_clause 0x1
	global_load_dwordx4 v[76:79], v80, s[4:5] offset:832
	global_load_dwordx4 v[89:92], v80, s[4:5] offset:1664
	s_waitcnt vmcnt(1)
	v_mul_f64 v[4:5], v[74:75], v[78:79]
	v_mul_f64 v[6:7], v[72:73], v[78:79]
	v_fma_f64 v[72:73], v[72:73], v[76:77], -v[4:5]
	v_fma_f64 v[74:75], v[74:75], v[76:77], v[6:7]
	s_waitcnt lgkmcnt(0)
	v_mul_f64 v[4:5], v[87:88], v[83:84]
	v_mul_f64 v[6:7], v[85:86], v[83:84]
	v_fma_f64 v[76:77], v[85:86], v[81:82], -v[4:5]
	v_fma_f64 v[78:79], v[87:88], v[81:82], v[6:7]
	ds_read_b128 v[80:83], v100 offset:1664
	ds_read_b128 v[148:151], v100 offset:2496
	s_waitcnt vmcnt(0) lgkmcnt(1)
	v_mul_f64 v[4:5], v[82:83], v[91:92]
	v_mul_f64 v[6:7], v[80:81], v[91:92]
	v_fma_f64 v[80:81], v[80:81], v[89:90], -v[4:5]
	v_add_co_u32 v4, s0, 0x800, v0
	v_add_co_ci_u32_e64 v5, s0, 0, v1, s0
	v_fma_f64 v[82:83], v[82:83], v[89:90], v[6:7]
	s_clause 0x1
	global_load_dwordx4 v[86:89], v[2:3], off offset:1408
	global_load_dwordx4 v[90:93], v[4:5], off offset:448
	ds_read_b128 v[158:161], v100 offset:11648
	ds_read_b128 v[166:169], v100 offset:12480
	s_waitcnt vmcnt(1) lgkmcnt(1)
	v_mul_f64 v[2:3], v[160:161], v[88:89]
	v_mul_f64 v[6:7], v[158:159], v[88:89]
	v_fma_f64 v[84:85], v[158:159], v[86:87], -v[2:3]
	s_waitcnt vmcnt(0)
	v_mul_f64 v[2:3], v[150:151], v[92:93]
	v_fma_f64 v[86:87], v[160:161], v[86:87], v[6:7]
	v_mul_f64 v[6:7], v[148:149], v[92:93]
	v_fma_f64 v[88:89], v[148:149], v[90:91], -v[2:3]
	v_add_co_u32 v2, s0, 0x3000, v0
	v_add_co_ci_u32_e64 v3, s0, 0, v1, s0
	v_fma_f64 v[90:91], v[150:151], v[90:91], v[6:7]
	s_clause 0x1
	global_load_dwordx4 v[150:153], v[4:5], off offset:1280
	global_load_dwordx4 v[158:161], v[2:3], off offset:192
	s_waitcnt vmcnt(0) lgkmcnt(0)
	v_mul_f64 v[4:5], v[168:169], v[160:161]
	v_mul_f64 v[6:7], v[166:167], v[160:161]
	v_fma_f64 v[92:93], v[166:167], v[158:159], -v[4:5]
	v_fma_f64 v[94:95], v[168:169], v[158:159], v[6:7]
	ds_read_b128 v[158:161], v100 offset:3328
	ds_read_b128 v[166:169], v100 offset:4160
	s_waitcnt lgkmcnt(1)
	v_mul_f64 v[4:5], v[160:161], v[152:153]
	v_mul_f64 v[6:7], v[158:159], v[152:153]
	v_fma_f64 v[148:149], v[158:159], v[150:151], -v[4:5]
	v_fma_f64 v[150:151], v[160:161], v[150:151], v[6:7]
	ds_read_b128 v[158:161], v100 offset:13312
	ds_read_b128 v[170:173], v100 offset:14144
	s_waitcnt lgkmcnt(1)
	v_mul_f64 v[4:5], v[160:161], v[156:157]
	v_mul_f64 v[6:7], v[158:159], v[156:157]
	v_fma_f64 v[152:153], v[158:159], v[154:155], -v[4:5]
	v_add_co_u32 v4, s0, 0x1000, v0
	v_add_co_ci_u32_e64 v5, s0, 0, v1, s0
	v_fma_f64 v[154:155], v[160:161], v[154:155], v[6:7]
	s_clause 0x1
	global_load_dwordx4 v[174:177], v[2:3], off offset:1856
	global_load_dwordx4 v[158:161], v[4:5], off offset:64
	s_waitcnt vmcnt(0)
	v_mul_f64 v[2:3], v[168:169], v[160:161]
	v_mul_f64 v[6:7], v[166:167], v[160:161]
	v_fma_f64 v[156:157], v[166:167], v[158:159], -v[2:3]
	v_fma_f64 v[158:159], v[168:169], v[158:159], v[6:7]
	s_waitcnt lgkmcnt(0)
	v_mul_f64 v[2:3], v[172:173], v[176:177]
	v_mul_f64 v[6:7], v[170:171], v[176:177]
	v_fma_f64 v[160:161], v[170:171], v[174:175], -v[2:3]
	v_fma_f64 v[162:163], v[172:173], v[174:175], v[6:7]
	s_clause 0x1
	global_load_dwordx4 v[166:169], v[4:5], off offset:896
	global_load_dwordx4 v[170:173], v[4:5], off offset:1728
	ds_read_b128 v[174:177], v100 offset:4992
	ds_read_b128 v[220:223], v100 offset:5824
	s_waitcnt vmcnt(1) lgkmcnt(1)
	v_mul_f64 v[2:3], v[176:177], v[168:169]
	v_mul_f64 v[4:5], v[174:175], v[168:169]
	v_fma_f64 v[174:175], v[174:175], v[166:167], -v[2:3]
	v_add_co_u32 v2, s0, 0x3800, v0
	v_add_co_ci_u32_e64 v3, s0, 0, v1, s0
	v_fma_f64 v[176:177], v[176:177], v[166:167], v[4:5]
	s_clause 0x1
	global_load_dwordx4 v[166:169], v[2:3], off offset:640
	global_load_dwordx4 v[224:227], v[2:3], off offset:1472
	ds_read_b128 v[228:231], v100 offset:14976
	ds_read_b128 v[232:235], v100 offset:15808
	s_waitcnt vmcnt(1) lgkmcnt(1)
	v_mul_f64 v[2:3], v[230:231], v[168:169]
	v_mul_f64 v[4:5], v[228:229], v[168:169]
	v_fma_f64 v[228:229], v[228:229], v[166:167], -v[2:3]
	v_mul_f64 v[2:3], v[222:223], v[172:173]
	v_fma_f64 v[230:231], v[230:231], v[166:167], v[4:5]
	v_mul_f64 v[4:5], v[220:221], v[172:173]
	v_fma_f64 v[166:167], v[220:221], v[170:171], -v[2:3]
	s_waitcnt vmcnt(0) lgkmcnt(0)
	v_mul_f64 v[2:3], v[234:235], v[226:227]
	v_fma_f64 v[168:169], v[222:223], v[170:171], v[4:5]
	v_mul_f64 v[4:5], v[232:233], v[226:227]
	v_fma_f64 v[170:171], v[232:233], v[224:225], -v[2:3]
	v_add_co_u32 v2, s0, 0x1800, v0
	v_add_co_ci_u32_e64 v3, s0, 0, v1, s0
	v_fma_f64 v[172:173], v[234:235], v[224:225], v[4:5]
	s_clause 0x1
	global_load_dwordx4 v[220:223], v[2:3], off offset:512
	global_load_dwordx4 v[224:227], v[2:3], off offset:1344
	ds_read_b128 v[232:235], v100 offset:6656
	ds_read_b128 v[236:239], v100 offset:7488
	s_waitcnt vmcnt(1) lgkmcnt(1)
	v_mul_f64 v[2:3], v[234:235], v[222:223]
	v_mul_f64 v[4:5], v[232:233], v[222:223]
	v_fma_f64 v[232:233], v[232:233], v[220:221], -v[2:3]
	v_add_co_u32 v2, s0, 0x4000, v0
	v_add_co_ci_u32_e64 v3, s0, 0, v1, s0
	v_fma_f64 v[234:235], v[234:235], v[220:221], v[4:5]
	s_clause 0x1
	global_load_dwordx4 v[220:223], v[2:3], off offset:256
	global_load_dwordx4 v[240:243], v[2:3], off offset:1088
	ds_read_b128 v[244:247], v100 offset:16640
	ds_read_b128 v[248:251], v100 offset:17472
	s_waitcnt vmcnt(1) lgkmcnt(1)
	v_mul_f64 v[4:5], v[246:247], v[222:223]
	v_mul_f64 v[6:7], v[244:245], v[222:223]
	v_fma_f64 v[244:245], v[244:245], v[220:221], -v[4:5]
	v_fma_f64 v[246:247], v[246:247], v[220:221], v[6:7]
	v_mul_f64 v[4:5], v[238:239], v[226:227]
	v_mul_f64 v[6:7], v[236:237], v[226:227]
	v_fma_f64 v[220:221], v[236:237], v[224:225], -v[4:5]
	v_fma_f64 v[222:223], v[238:239], v[224:225], v[6:7]
	s_waitcnt vmcnt(0) lgkmcnt(0)
	v_mul_f64 v[4:5], v[250:251], v[242:243]
	v_mul_f64 v[6:7], v[248:249], v[242:243]
	v_fma_f64 v[224:225], v[248:249], v[240:241], -v[4:5]
	v_fma_f64 v[226:227], v[250:251], v[240:241], v[6:7]
	s_clause 0x1
	global_load_dwordx4 v[236:239], v[164:165], off offset:128
	global_load_dwordx4 v[240:243], v[164:165], off offset:960
	ds_read_b128 v[248:251], v100 offset:8320
	ds_read_b128 v[252:255], v100 offset:9152
	s_waitcnt vmcnt(1) lgkmcnt(1)
	v_mul_f64 v[4:5], v[250:251], v[238:239]
	v_mul_f64 v[6:7], v[248:249], v[238:239]
	v_fma_f64 v[248:249], v[248:249], v[236:237], -v[4:5]
	v_add_co_u32 v4, s0, 0x4800, v0
	v_add_co_ci_u32_e64 v5, s0, 0, v1, s0
	v_fma_f64 v[250:251], v[250:251], v[236:237], v[6:7]
	s_clause 0x1
	global_load_dwordx4 v[0:3], v[2:3], off offset:1920
	global_load_dwordx4 v[236:239], v[4:5], off offset:704
	ds_read_b128 v[4:7], v100 offset:18304
	ds_read_b128 v[8:11], v100 offset:19136
	s_waitcnt vmcnt(1) lgkmcnt(1)
	v_mul_f64 v[164:165], v[6:7], v[2:3]
	v_mul_f64 v[178:179], v[4:5], v[2:3]
	v_fma_f64 v[2:3], v[4:5], v[0:1], -v[164:165]
	v_fma_f64 v[4:5], v[6:7], v[0:1], v[178:179]
	v_mul_f64 v[0:1], v[254:255], v[242:243]
	v_mul_f64 v[6:7], v[252:253], v[242:243]
	s_waitcnt vmcnt(0) lgkmcnt(0)
	v_mul_f64 v[164:165], v[8:9], v[238:239]
	v_fma_f64 v[252:253], v[252:253], v[240:241], -v[0:1]
	v_mul_f64 v[0:1], v[10:11], v[238:239]
	v_fma_f64 v[254:255], v[254:255], v[240:241], v[6:7]
	v_fma_f64 v[6:7], v[8:9], v[236:237], -v[0:1]
	v_fma_f64 v[8:9], v[10:11], v[236:237], v[164:165]
	ds_write_b128 v100, v[64:67]
	ds_write_b128 v100, v[68:71] offset:9984
	ds_write_b128 v100, v[72:75] offset:832
	;; [unrolled: 1-line block ×23, first 2 shown]
	s_waitcnt lgkmcnt(0)
	s_barrier
	buffer_gl0_inv
	ds_read_b128 v[0:3], v100 offset:9984
	ds_read_b128 v[4:7], v100
	ds_read_b128 v[8:11], v100 offset:832
	ds_read_b128 v[64:67], v100 offset:10816
	;; [unrolled: 1-line block ×22, first 2 shown]
	s_waitcnt lgkmcnt(0)
	s_barrier
	buffer_gl0_inv
	buffer_load_dword v12, off, s[48:51], 0 offset:924 ; 4-byte Folded Reload
	v_add_f64 v[0:1], v[4:5], -v[0:1]
	v_add_f64 v[2:3], v[6:7], -v[2:3]
	v_fma_f64 v[4:5], v[4:5], 2.0, -v[0:1]
	v_fma_f64 v[6:7], v[6:7], 2.0, -v[2:3]
	s_waitcnt vmcnt(0)
	ds_write_b128 v12, v[0:3] offset:16
	ds_write_b128 v12, v[4:7]
	v_add_f64 v[0:1], v[8:9], -v[64:65]
	v_add_f64 v[2:3], v[10:11], -v[66:67]
	v_fma_f64 v[4:5], v[8:9], 2.0, -v[0:1]
	v_fma_f64 v[6:7], v[10:11], 2.0, -v[2:3]
	ds_write_b128 v103, v[4:7]
	ds_write_b128 v103, v[0:3] offset:16
	buffer_load_dword v8, off, s[48:51], 0 offset:1028 ; 4-byte Folded Reload
	v_add_f64 v[0:1], v[68:69], -v[76:77]
	v_add_f64 v[2:3], v[70:71], -v[78:79]
	v_fma_f64 v[4:5], v[68:69], 2.0, -v[0:1]
	v_fma_f64 v[6:7], v[70:71], 2.0, -v[2:3]
	s_waitcnt vmcnt(0)
	ds_write_b128 v8, v[4:7]
	ds_write_b128 v8, v[0:3] offset:16
	buffer_load_dword v8, off, s[48:51], 0 offset:1024 ; 4-byte Folded Reload
	v_add_f64 v[0:1], v[72:73], -v[80:81]
	v_add_f64 v[2:3], v[74:75], -v[82:83]
	v_fma_f64 v[4:5], v[72:73], 2.0, -v[0:1]
	v_fma_f64 v[6:7], v[74:75], 2.0, -v[2:3]
	s_waitcnt vmcnt(0)
	;; [unrolled: 8-line block ×10, first 2 shown]
	ds_write_b128 v8, v[4:7]
	ds_write_b128 v8, v[0:3] offset:16
	s_waitcnt lgkmcnt(0)
	s_barrier
	buffer_gl0_inv
	ds_read_b128 v[0:3], v100 offset:9984
	ds_read_b128 v[4:7], v100 offset:10816
	s_waitcnt lgkmcnt(1)
	v_mul_f64 v[8:9], v[62:63], v[2:3]
	v_fma_f64 v[8:9], v[60:61], v[0:1], v[8:9]
	v_mul_f64 v[0:1], v[62:63], v[0:1]
	v_fma_f64 v[10:11], v[60:61], v[2:3], -v[0:1]
	s_waitcnt lgkmcnt(0)
	v_mul_f64 v[0:1], v[62:63], v[6:7]
	v_fma_f64 v[152:153], v[60:61], v[4:5], v[0:1]
	v_mul_f64 v[0:1], v[62:63], v[4:5]
	v_fma_f64 v[154:155], v[60:61], v[6:7], -v[0:1]
	ds_read_b128 v[0:3], v100 offset:11648
	ds_read_b128 v[4:7], v100 offset:12480
	s_waitcnt lgkmcnt(1)
	v_mul_f64 v[64:65], v[62:63], v[2:3]
	v_fma_f64 v[156:157], v[60:61], v[0:1], v[64:65]
	v_mul_f64 v[0:1], v[62:63], v[0:1]
	v_fma_f64 v[158:159], v[60:61], v[2:3], -v[0:1]
	s_waitcnt lgkmcnt(0)
	v_mul_f64 v[0:1], v[62:63], v[6:7]
	v_fma_f64 v[160:161], v[60:61], v[4:5], v[0:1]
	v_mul_f64 v[0:1], v[62:63], v[4:5]
	v_fma_f64 v[162:163], v[60:61], v[6:7], -v[0:1]
	;; [unrolled: 12-line block ×6, first 2 shown]
	ds_read_b128 v[0:3], v100
	ds_read_b128 v[4:7], v100 offset:832
	ds_read_b128 v[60:63], v100 offset:1664
	;; [unrolled: 1-line block ×11, first 2 shown]
	s_waitcnt lgkmcnt(0)
	s_barrier
	buffer_gl0_inv
	buffer_load_dword v12, off, s[48:51], 0 offset:960 ; 4-byte Folded Reload
	v_add_f64 v[8:9], v[0:1], -v[8:9]
	v_add_f64 v[10:11], v[2:3], -v[10:11]
	v_fma_f64 v[0:1], v[0:1], 2.0, -v[8:9]
	v_fma_f64 v[2:3], v[2:3], 2.0, -v[10:11]
	s_waitcnt vmcnt(0)
	ds_write_b128 v12, v[8:11] offset:32
	ds_write_b128 v12, v[0:3]
	buffer_load_dword v8, off, s[48:51], 0 offset:988 ; 4-byte Folded Reload
	v_add_f64 v[0:1], v[4:5], -v[152:153]
	v_add_f64 v[2:3], v[6:7], -v[154:155]
	v_fma_f64 v[4:5], v[4:5], 2.0, -v[0:1]
	v_fma_f64 v[6:7], v[6:7], 2.0, -v[2:3]
	s_waitcnt vmcnt(0)
	ds_write_b128 v8, v[4:7]
	ds_write_b128 v8, v[0:3] offset:32
	buffer_load_dword v8, off, s[48:51], 0 offset:984 ; 4-byte Folded Reload
	v_add_f64 v[0:1], v[60:61], -v[156:157]
	v_add_f64 v[2:3], v[62:63], -v[158:159]
	v_fma_f64 v[4:5], v[60:61], 2.0, -v[0:1]
	v_fma_f64 v[6:7], v[62:63], 2.0, -v[2:3]
	v_add_f64 v[60:61], v[76:77], -v[172:173]
	v_add_f64 v[62:63], v[78:79], -v[174:175]
	;; [unrolled: 1-line block ×4, first 2 shown]
	s_waitcnt vmcnt(0)
	ds_write_b128 v8, v[4:7]
	ds_write_b128 v8, v[0:3] offset:32
	buffer_load_dword v8, off, s[48:51], 0 offset:980 ; 4-byte Folded Reload
	v_add_f64 v[0:1], v[64:65], -v[160:161]
	v_add_f64 v[2:3], v[66:67], -v[162:163]
	v_fma_f64 v[92:93], v[92:93], 2.0, -v[172:173]
	v_fma_f64 v[94:95], v[94:95], 2.0, -v[174:175]
	;; [unrolled: 1-line block ×4, first 2 shown]
	s_waitcnt vmcnt(0)
	ds_write_b128 v8, v[4:7]
	ds_write_b128 v8, v[0:3] offset:32
	buffer_load_dword v8, off, s[48:51], 0 offset:972 ; 4-byte Folded Reload
	v_add_f64 v[0:1], v[68:69], -v[164:165]
	v_add_f64 v[2:3], v[70:71], -v[166:167]
	v_fma_f64 v[4:5], v[68:69], 2.0, -v[0:1]
	v_fma_f64 v[6:7], v[70:71], 2.0, -v[2:3]
	v_add_f64 v[68:69], v[148:149], -v[232:233]
	v_add_f64 v[70:71], v[150:151], -v[234:235]
	s_waitcnt vmcnt(0)
	ds_write_b128 v8, v[4:7]
	ds_write_b128 v8, v[0:3] offset:32
	buffer_load_dword v8, off, s[48:51], 0 offset:968 ; 4-byte Folded Reload
	v_add_f64 v[0:1], v[72:73], -v[168:169]
	v_add_f64 v[2:3], v[74:75], -v[170:171]
	v_fma_f64 v[4:5], v[72:73], 2.0, -v[0:1]
	v_fma_f64 v[6:7], v[74:75], 2.0, -v[2:3]
	v_add_f64 v[72:73], v[84:85], -v[220:221]
	v_add_f64 v[74:75], v[86:87], -v[222:223]
	s_waitcnt vmcnt(0)
	ds_write_b128 v8, v[4:7]
	ds_write_b128 v8, v[0:3] offset:32
	buffer_load_dword v4, off, s[48:51], 0 offset:964 ; 4-byte Folded Reload
	v_fma_f64 v[0:1], v[76:77], 2.0, -v[60:61]
	v_fma_f64 v[2:3], v[78:79], 2.0, -v[62:63]
	v_add_f64 v[76:77], v[80:81], -v[176:177]
	v_add_f64 v[78:79], v[82:83], -v[178:179]
	v_fma_f64 v[64:65], v[84:85], 2.0, -v[72:73]
	v_fma_f64 v[66:67], v[86:87], 2.0, -v[74:75]
	v_add_f64 v[84:85], v[88:89], -v[224:225]
	v_add_f64 v[86:87], v[90:91], -v[226:227]
	s_waitcnt vmcnt(0)
	ds_write_b128 v4, v[0:3]
	ds_write_b128 v4, v[60:63] offset:32
	buffer_load_dword v0, off, s[48:51], 0 offset:956 ; 4-byte Folded Reload
	v_fma_f64 v[176:177], v[80:81], 2.0, -v[76:77]
	v_fma_f64 v[178:179], v[82:83], 2.0, -v[78:79]
	;; [unrolled: 1-line block ×6, first 2 shown]
	s_waitcnt vmcnt(0)
	ds_write_b128 v0, v[176:179]
	ds_write_b128 v0, v[76:79] offset:32
	buffer_load_dword v0, off, s[48:51], 0 offset:952 ; 4-byte Folded Reload
	s_waitcnt vmcnt(0)
	ds_write_b128 v0, v[64:67]
	ds_write_b128 v0, v[72:75] offset:32
	buffer_load_dword v0, off, s[48:51], 0 offset:948 ; 4-byte Folded Reload
	s_waitcnt vmcnt(0)
	ds_write_b128 v0, v[80:83]
	ds_write_b128 v0, v[84:87] offset:32
	buffer_load_dword v0, off, s[48:51], 0 offset:944 ; 4-byte Folded Reload
	s_waitcnt vmcnt(0)
	ds_write_b128 v0, v[92:95]
	ds_write_b128 v0, v[172:175] offset:32
	buffer_load_dword v0, off, s[48:51], 0 offset:940 ; 4-byte Folded Reload
	s_waitcnt vmcnt(0)
	ds_write_b128 v0, v[88:91]
	ds_write_b128 v0, v[68:71] offset:32
	s_waitcnt lgkmcnt(0)
	s_barrier
	buffer_gl0_inv
	ds_read_b128 v[148:151], v100
	ds_read_b128 v[244:247], v100 offset:1536
	ds_read_b128 v[240:243], v100 offset:3072
	;; [unrolled: 1-line block ×12, first 2 shown]
	s_and_saveexec_b32 s0, vcc_lo
	s_cbranch_execz .LBB0_7
; %bb.6:
	ds_read_b128 v[60:63], v100 offset:832
	ds_read_b128 v[176:179], v100 offset:2368
	;; [unrolled: 1-line block ×12, first 2 shown]
	s_waitcnt lgkmcnt(0)
	buffer_store_dword v0, off, s[48:51], 0 offset:8 ; 4-byte Folded Spill
	buffer_store_dword v1, off, s[48:51], 0 offset:12 ; 4-byte Folded Spill
	;; [unrolled: 1-line block ×4, first 2 shown]
	ds_read_b128 v[0:3], v100 offset:19264
	s_waitcnt lgkmcnt(0)
	buffer_store_dword v0, off, s[48:51], 0 offset:24 ; 4-byte Folded Spill
	buffer_store_dword v1, off, s[48:51], 0 offset:28 ; 4-byte Folded Spill
	;; [unrolled: 1-line block ×4, first 2 shown]
.LBB0_7:
	s_or_b32 exec_lo, exec_lo, s0
	s_clause 0x3
	buffer_load_dword v36, off, s[48:51], 0 offset:436
	buffer_load_dword v37, off, s[48:51], 0 offset:440
	;; [unrolled: 1-line block ×4, first 2 shown]
	s_waitcnt lgkmcnt(11)
	v_mul_f64 v[0:1], v[106:107], v[246:247]
	s_waitcnt lgkmcnt(10)
	v_mul_f64 v[4:5], v[110:111], v[242:243]
	v_mul_f64 v[2:3], v[106:107], v[244:245]
	s_waitcnt lgkmcnt(0)
	v_mul_f64 v[6:7], v[142:143], v[152:153]
	s_mov_b32 s40, 0x4267c47c
	s_mov_b32 s41, 0xbfddbe06
	;; [unrolled: 1-line block ×18, first 2 shown]
	v_fma_f64 v[0:1], v[104:105], v[244:245], v[0:1]
	v_fma_f64 v[244:245], v[108:109], v[240:241], v[4:5]
	v_mul_f64 v[4:5], v[110:111], v[240:241]
	v_fma_f64 v[2:3], v[104:105], v[246:247], -v[2:3]
	v_fma_f64 v[6:7], v[140:141], v[154:155], -v[6:7]
	s_mov_b32 s22, 0x66966769
	s_mov_b32 s26, 0x2ef20147
	;; [unrolled: 1-line block ×13, first 2 shown]
	v_add_f64 v[8:9], v[148:149], v[0:1]
	v_fma_f64 v[242:243], v[108:109], v[242:243], -v[4:5]
	v_add_f64 v[10:11], v[150:151], v[2:3]
	v_add_f64 v[8:9], v[8:9], v[244:245]
	;; [unrolled: 1-line block ×3, first 2 shown]
	s_waitcnt vmcnt(0)
	v_mul_f64 v[4:5], v[38:39], v[238:239]
	v_fma_f64 v[240:241], v[36:37], v[236:237], v[4:5]
	v_mul_f64 v[4:5], v[38:39], v[236:237]
	v_add_f64 v[8:9], v[8:9], v[240:241]
	v_fma_f64 v[238:239], v[36:37], v[238:239], -v[4:5]
	v_mul_f64 v[4:5], v[114:115], v[234:235]
	v_add_f64 v[10:11], v[10:11], v[238:239]
	v_fma_f64 v[236:237], v[112:113], v[232:233], v[4:5]
	v_mul_f64 v[4:5], v[114:115], v[232:233]
	v_add_f64 v[8:9], v[8:9], v[236:237]
	v_fma_f64 v[234:235], v[112:113], v[234:235], -v[4:5]
	v_mul_f64 v[4:5], v[126:127], v[230:231]
	v_add_f64 v[10:11], v[10:11], v[234:235]
	;; [unrolled: 6-line block ×9, first 2 shown]
	v_fma_f64 v[4:5], v[140:141], v[152:153], v[4:5]
	v_add_f64 v[10:11], v[10:11], v[6:7]
	v_add_f64 v[8:9], v[8:9], v[4:5]
	;; [unrolled: 1-line block ×3, first 2 shown]
	v_add_f64 v[152:153], v[0:1], -v[4:5]
	v_add_f64 v[4:5], v[2:3], -v[6:7]
	buffer_store_dword v8, off, s[48:51], 0 offset:924 ; 4-byte Folded Spill
	buffer_store_dword v9, off, s[48:51], 0 offset:928 ; 4-byte Folded Spill
	;; [unrolled: 1-line block ×4, first 2 shown]
	v_add_f64 v[8:9], v[2:3], v[6:7]
	s_waitcnt_vscnt null, 0x0
	v_mul_f64 v[0:1], v[4:5], s[40:41]
	v_mul_f64 v[16:17], v[4:5], s[26:27]
	;; [unrolled: 1-line block ×3, first 2 shown]
	s_barrier
	buffer_gl0_inv
	v_mul_f64 v[12:13], v[8:9], s[14:15]
	v_mul_f64 v[20:21], v[8:9], s[20:21]
	v_fma_f64 v[2:3], v[250:251], s[0:1], v[0:1]
	v_fma_f64 v[0:1], v[250:251], s[0:1], -v[0:1]
	v_mul_f64 v[28:29], v[8:9], s[24:25]
	v_fma_f64 v[18:19], v[250:251], s[20:21], v[16:17]
	v_fma_f64 v[16:17], v[250:251], s[20:21], -v[16:17]
	v_fma_f64 v[26:27], v[250:251], s[24:25], v[24:25]
	v_fma_f64 v[24:25], v[250:251], s[24:25], -v[24:25]
	v_fma_f64 v[14:15], v[152:153], s[16:17], v[12:13]
	v_fma_f64 v[12:13], v[152:153], s[22:23], v[12:13]
	v_add_f64 v[248:249], v[148:149], v[2:3]
	v_mul_f64 v[2:3], v[8:9], s[0:1]
	v_add_f64 v[158:159], v[148:149], v[0:1]
	v_fma_f64 v[22:23], v[152:153], s[38:39], v[20:21]
	v_fma_f64 v[20:21], v[152:153], s[26:27], v[20:21]
	;; [unrolled: 1-line block ×4, first 2 shown]
	v_add_f64 v[18:19], v[148:149], v[18:19]
	v_add_f64 v[16:17], v[148:149], v[16:17]
	;; [unrolled: 1-line block ×6, first 2 shown]
	v_fma_f64 v[0:1], v[152:153], s[40:41], v[2:3]
	v_fma_f64 v[6:7], v[152:153], s[4:5], v[2:3]
	v_add_f64 v[22:23], v[150:151], v[22:23]
	v_add_f64 v[20:21], v[150:151], v[20:21]
	;; [unrolled: 1-line block ×5, first 2 shown]
	v_mul_f64 v[0:1], v[4:5], s[18:19]
	v_add_f64 v[154:155], v[150:151], v[6:7]
	v_fma_f64 v[2:3], v[250:251], s[6:7], v[0:1]
	v_fma_f64 v[0:1], v[250:251], s[6:7], -v[0:1]
	v_add_f64 v[252:253], v[148:149], v[2:3]
	v_mul_f64 v[2:3], v[8:9], s[6:7]
	v_mul_f64 v[8:9], v[8:9], s[30:31]
	v_add_f64 v[0:1], v[148:149], v[0:1]
	v_fma_f64 v[6:7], v[152:153], s[12:13], v[2:3]
	v_fma_f64 v[2:3], v[152:153], s[18:19], v[2:3]
	;; [unrolled: 1-line block ×4, first 2 shown]
	v_add_f64 v[152:153], v[244:245], -v[162:163]
	v_add_f64 v[254:255], v[150:151], v[6:7]
	v_mul_f64 v[6:7], v[4:5], s[22:23]
	v_mul_f64 v[4:5], v[4:5], s[34:35]
	v_add_f64 v[2:3], v[150:151], v[2:3]
	v_add_f64 v[34:35], v[150:151], v[34:35]
	;; [unrolled: 1-line block ×4, first 2 shown]
	v_add_f64 v[156:157], v[242:243], -v[156:157]
	v_fma_f64 v[10:11], v[250:251], s[14:15], v[6:7]
	v_fma_f64 v[6:7], v[250:251], s[14:15], -v[6:7]
	v_fma_f64 v[32:33], v[250:251], s[30:31], v[4:5]
	v_fma_f64 v[4:5], v[250:251], s[30:31], -v[4:5]
	v_add_f64 v[10:11], v[148:149], v[10:11]
	v_add_f64 v[6:7], v[148:149], v[6:7]
	;; [unrolled: 1-line block ×5, first 2 shown]
	v_mul_f64 v[162:163], v[156:157], s[18:19]
	v_mul_f64 v[244:245], v[150:151], s[6:7]
	v_fma_f64 v[242:243], v[148:149], s[6:7], v[162:163]
	v_fma_f64 v[162:163], v[148:149], s[6:7], -v[162:163]
	v_add_f64 v[242:243], v[242:243], v[248:249]
	v_fma_f64 v[248:249], v[152:153], s[12:13], v[244:245]
	v_add_f64 v[158:159], v[162:163], v[158:159]
	v_fma_f64 v[162:163], v[152:153], s[18:19], v[244:245]
	v_mul_f64 v[244:245], v[156:157], s[26:27]
	v_add_f64 v[154:155], v[248:249], v[154:155]
	v_mul_f64 v[248:249], v[150:151], s[20:21]
	v_add_f64 v[162:163], v[162:163], v[246:247]
	v_fma_f64 v[246:247], v[148:149], s[20:21], v[244:245]
	v_fma_f64 v[244:245], v[148:149], s[20:21], -v[244:245]
	v_fma_f64 v[250:251], v[152:153], s[38:39], v[248:249]
	v_add_f64 v[246:247], v[246:247], v[252:253]
	v_add_f64 v[0:1], v[244:245], v[0:1]
	v_fma_f64 v[244:245], v[152:153], s[26:27], v[248:249]
	v_add_f64 v[250:251], v[250:251], v[254:255]
	v_add_f64 v[2:3], v[244:245], v[2:3]
	v_mul_f64 v[244:245], v[156:157], s[34:35]
	v_fma_f64 v[248:249], v[148:149], s[30:31], v[244:245]
	v_fma_f64 v[244:245], v[148:149], s[30:31], -v[244:245]
	v_add_f64 v[10:11], v[248:249], v[10:11]
	v_mul_f64 v[248:249], v[150:151], s[30:31]
	v_add_f64 v[6:7], v[244:245], v[6:7]
	v_fma_f64 v[244:245], v[152:153], s[34:35], v[248:249]
	v_fma_f64 v[252:253], v[152:153], s[42:43], v[248:249]
	v_add_f64 v[12:13], v[244:245], v[12:13]
	v_mul_f64 v[244:245], v[156:157], s[36:37]
	v_add_f64 v[14:15], v[252:253], v[14:15]
	v_fma_f64 v[248:249], v[148:149], s[24:25], v[244:245]
	v_fma_f64 v[244:245], v[148:149], s[24:25], -v[244:245]
	v_add_f64 v[18:19], v[248:249], v[18:19]
	v_mul_f64 v[248:249], v[150:151], s[24:25]
	v_add_f64 v[16:17], v[244:245], v[16:17]
	v_fma_f64 v[244:245], v[152:153], s[36:37], v[248:249]
	v_fma_f64 v[252:253], v[152:153], s[28:29], v[248:249]
	v_add_f64 v[20:21], v[244:245], v[20:21]
	v_mul_f64 v[244:245], v[156:157], s[16:17]
	v_mul_f64 v[156:157], v[156:157], s[4:5]
	v_add_f64 v[22:23], v[252:253], v[22:23]
	v_fma_f64 v[248:249], v[148:149], s[14:15], v[244:245]
	v_fma_f64 v[244:245], v[148:149], s[14:15], -v[244:245]
	v_add_f64 v[26:27], v[248:249], v[26:27]
	v_mul_f64 v[248:249], v[150:151], s[14:15]
	v_add_f64 v[24:25], v[244:245], v[24:25]
	v_mul_f64 v[150:151], v[150:151], s[0:1]
	v_fma_f64 v[244:245], v[152:153], s[16:17], v[248:249]
	v_fma_f64 v[252:253], v[152:153], s[22:23], v[248:249]
	v_add_f64 v[28:29], v[244:245], v[28:29]
	v_fma_f64 v[244:245], v[148:149], s[0:1], v[156:157]
	v_fma_f64 v[148:149], v[148:149], s[0:1], -v[156:157]
	v_add_f64 v[156:157], v[238:239], -v[160:161]
	v_add_f64 v[30:31], v[252:253], v[30:31]
	v_add_f64 v[32:33], v[244:245], v[32:33]
	;; [unrolled: 1-line block ×3, first 2 shown]
	v_fma_f64 v[148:149], v[152:153], s[4:5], v[150:151]
	v_fma_f64 v[244:245], v[152:153], s[40:41], v[150:151]
	v_add_f64 v[150:151], v[238:239], v[160:161]
	v_mul_f64 v[160:161], v[156:157], s[22:23]
	v_add_f64 v[152:153], v[240:241], -v[166:167]
	v_add_f64 v[8:9], v[148:149], v[8:9]
	v_add_f64 v[148:149], v[240:241], v[166:167]
	v_mul_f64 v[238:239], v[150:151], s[14:15]
	v_add_f64 v[34:35], v[244:245], v[34:35]
	v_fma_f64 v[166:167], v[148:149], s[14:15], v[160:161]
	v_fma_f64 v[160:161], v[148:149], s[14:15], -v[160:161]
	v_fma_f64 v[240:241], v[152:153], s[16:17], v[238:239]
	v_add_f64 v[166:167], v[166:167], v[242:243]
	v_add_f64 v[158:159], v[160:161], v[158:159]
	v_fma_f64 v[160:161], v[152:153], s[22:23], v[238:239]
	v_add_f64 v[154:155], v[240:241], v[154:155]
	v_mul_f64 v[240:241], v[150:151], s[30:31]
	v_add_f64 v[160:161], v[160:161], v[162:163]
	v_mul_f64 v[162:163], v[156:157], s[34:35]
	v_fma_f64 v[242:243], v[152:153], s[42:43], v[240:241]
	v_fma_f64 v[238:239], v[148:149], s[30:31], v[162:163]
	v_fma_f64 v[162:163], v[148:149], s[30:31], -v[162:163]
	v_add_f64 v[242:243], v[242:243], v[250:251]
	v_add_f64 v[238:239], v[238:239], v[246:247]
	;; [unrolled: 1-line block ×3, first 2 shown]
	v_fma_f64 v[162:163], v[152:153], s[34:35], v[240:241]
	v_add_f64 v[2:3], v[162:163], v[2:3]
	v_mul_f64 v[162:163], v[156:157], s[38:39]
	v_fma_f64 v[240:241], v[148:149], s[20:21], v[162:163]
	v_fma_f64 v[162:163], v[148:149], s[20:21], -v[162:163]
	v_add_f64 v[10:11], v[240:241], v[10:11]
	v_mul_f64 v[240:241], v[150:151], s[20:21]
	v_add_f64 v[6:7], v[162:163], v[6:7]
	v_fma_f64 v[162:163], v[152:153], s[38:39], v[240:241]
	v_fma_f64 v[244:245], v[152:153], s[26:27], v[240:241]
	v_add_f64 v[12:13], v[162:163], v[12:13]
	v_mul_f64 v[162:163], v[156:157], s[4:5]
	v_add_f64 v[14:15], v[244:245], v[14:15]
	v_fma_f64 v[240:241], v[148:149], s[0:1], v[162:163]
	v_fma_f64 v[162:163], v[148:149], s[0:1], -v[162:163]
	v_add_f64 v[18:19], v[240:241], v[18:19]
	v_mul_f64 v[240:241], v[150:151], s[0:1]
	v_add_f64 v[16:17], v[162:163], v[16:17]
	v_fma_f64 v[162:163], v[152:153], s[4:5], v[240:241]
	v_fma_f64 v[244:245], v[152:153], s[40:41], v[240:241]
	v_add_f64 v[20:21], v[162:163], v[20:21]
	v_mul_f64 v[162:163], v[156:157], s[18:19]
	v_mul_f64 v[156:157], v[156:157], s[28:29]
	v_add_f64 v[22:23], v[244:245], v[22:23]
	v_fma_f64 v[240:241], v[148:149], s[6:7], v[162:163]
	v_fma_f64 v[162:163], v[148:149], s[6:7], -v[162:163]
	v_add_f64 v[26:27], v[240:241], v[26:27]
	v_mul_f64 v[240:241], v[150:151], s[6:7]
	v_add_f64 v[24:25], v[162:163], v[24:25]
	v_mul_f64 v[150:151], v[150:151], s[24:25]
	v_fma_f64 v[162:163], v[152:153], s[18:19], v[240:241]
	v_fma_f64 v[244:245], v[152:153], s[12:13], v[240:241]
	v_add_f64 v[240:241], v[224:225], v[220:221]
	v_add_f64 v[224:225], v[224:225], -v[220:221]
	v_add_f64 v[28:29], v[162:163], v[28:29]
	v_fma_f64 v[162:163], v[148:149], s[24:25], v[156:157]
	v_fma_f64 v[148:149], v[148:149], s[24:25], -v[156:157]
	v_add_f64 v[156:157], v[234:235], -v[164:165]
	v_add_f64 v[30:31], v[244:245], v[30:31]
	v_add_f64 v[32:33], v[162:163], v[32:33]
	v_fma_f64 v[162:163], v[152:153], s[36:37], v[150:151]
	v_add_f64 v[4:5], v[148:149], v[4:5]
	v_fma_f64 v[148:149], v[152:153], s[28:29], v[150:151]
	v_add_f64 v[150:151], v[234:235], v[164:165]
	v_add_f64 v[152:153], v[236:237], -v[170:171]
	v_add_f64 v[34:35], v[162:163], v[34:35]
	v_mul_f64 v[162:163], v[156:157], s[26:27]
	v_add_f64 v[8:9], v[148:149], v[8:9]
	v_add_f64 v[148:149], v[236:237], v[170:171]
	v_fma_f64 v[164:165], v[148:149], s[20:21], v[162:163]
	v_fma_f64 v[162:163], v[148:149], s[20:21], -v[162:163]
	v_add_f64 v[164:165], v[164:165], v[166:167]
	v_mul_f64 v[166:167], v[150:151], s[20:21]
	v_add_f64 v[158:159], v[162:163], v[158:159]
	v_fma_f64 v[162:163], v[152:153], s[26:27], v[166:167]
	v_fma_f64 v[170:171], v[152:153], s[38:39], v[166:167]
	v_add_f64 v[160:161], v[162:163], v[160:161]
	v_mul_f64 v[162:163], v[156:157], s[36:37]
	v_add_f64 v[154:155], v[170:171], v[154:155]
	v_mul_f64 v[170:171], v[150:151], s[24:25]
	v_fma_f64 v[166:167], v[148:149], s[24:25], v[162:163]
	v_fma_f64 v[162:163], v[148:149], s[24:25], -v[162:163]
	v_fma_f64 v[234:235], v[152:153], s[28:29], v[170:171]
	v_add_f64 v[166:167], v[166:167], v[238:239]
	v_add_f64 v[0:1], v[162:163], v[0:1]
	v_fma_f64 v[162:163], v[152:153], s[36:37], v[170:171]
	v_add_f64 v[234:235], v[234:235], v[242:243]
	v_add_f64 v[2:3], v[162:163], v[2:3]
	v_mul_f64 v[162:163], v[156:157], s[4:5]
	v_fma_f64 v[170:171], v[148:149], s[0:1], v[162:163]
	v_fma_f64 v[162:163], v[148:149], s[0:1], -v[162:163]
	v_add_f64 v[10:11], v[170:171], v[10:11]
	v_mul_f64 v[170:171], v[150:151], s[0:1]
	v_add_f64 v[6:7], v[162:163], v[6:7]
	v_fma_f64 v[162:163], v[152:153], s[4:5], v[170:171]
	v_fma_f64 v[236:237], v[152:153], s[40:41], v[170:171]
	v_add_f64 v[12:13], v[162:163], v[12:13]
	v_mul_f64 v[162:163], v[156:157], s[22:23]
	v_add_f64 v[14:15], v[236:237], v[14:15]
	v_fma_f64 v[170:171], v[148:149], s[14:15], v[162:163]
	v_fma_f64 v[162:163], v[148:149], s[14:15], -v[162:163]
	v_add_f64 v[18:19], v[170:171], v[18:19]
	v_mul_f64 v[170:171], v[150:151], s[14:15]
	v_add_f64 v[16:17], v[162:163], v[16:17]
	v_fma_f64 v[162:163], v[152:153], s[22:23], v[170:171]
	v_fma_f64 v[236:237], v[152:153], s[16:17], v[170:171]
	v_add_f64 v[20:21], v[162:163], v[20:21]
	v_mul_f64 v[162:163], v[156:157], s[42:43]
	v_mul_f64 v[156:157], v[156:157], s[12:13]
	v_add_f64 v[22:23], v[236:237], v[22:23]
	v_fma_f64 v[170:171], v[148:149], s[30:31], v[162:163]
	v_fma_f64 v[162:163], v[148:149], s[30:31], -v[162:163]
	v_add_f64 v[26:27], v[170:171], v[26:27]
	v_mul_f64 v[170:171], v[150:151], s[30:31]
	v_add_f64 v[24:25], v[162:163], v[24:25]
	v_mul_f64 v[150:151], v[150:151], s[6:7]
	v_fma_f64 v[162:163], v[152:153], s[42:43], v[170:171]
	v_fma_f64 v[236:237], v[152:153], s[34:35], v[170:171]
	v_add_f64 v[28:29], v[162:163], v[28:29]
	v_fma_f64 v[162:163], v[148:149], s[6:7], v[156:157]
	v_fma_f64 v[148:149], v[148:149], s[6:7], -v[156:157]
	v_add_f64 v[156:157], v[230:231], -v[168:169]
	v_add_f64 v[30:31], v[236:237], v[30:31]
	v_add_f64 v[32:33], v[162:163], v[32:33]
	v_fma_f64 v[162:163], v[152:153], s[18:19], v[150:151]
	v_add_f64 v[4:5], v[148:149], v[4:5]
	v_fma_f64 v[148:149], v[152:153], s[12:13], v[150:151]
	v_add_f64 v[150:151], v[230:231], v[168:169]
	v_add_f64 v[152:153], v[232:233], -v[222:223]
	v_add_f64 v[34:35], v[162:163], v[34:35]
	v_mul_f64 v[162:163], v[156:157], s[28:29]
	v_add_f64 v[8:9], v[148:149], v[8:9]
	v_add_f64 v[148:149], v[232:233], v[222:223]
	v_fma_f64 v[168:169], v[148:149], s[24:25], v[162:163]
	v_fma_f64 v[162:163], v[148:149], s[24:25], -v[162:163]
	v_add_f64 v[164:165], v[168:169], v[164:165]
	v_mul_f64 v[168:169], v[150:151], s[24:25]
	v_add_f64 v[158:159], v[162:163], v[158:159]
	v_fma_f64 v[162:163], v[152:153], s[28:29], v[168:169]
	v_fma_f64 v[170:171], v[152:153], s[36:37], v[168:169]
	v_add_f64 v[160:161], v[162:163], v[160:161]
	v_mul_f64 v[162:163], v[156:157], s[16:17]
	v_add_f64 v[154:155], v[170:171], v[154:155]
	v_fma_f64 v[168:169], v[148:149], s[14:15], v[162:163]
	v_fma_f64 v[162:163], v[148:149], s[14:15], -v[162:163]
	v_add_f64 v[166:167], v[168:169], v[166:167]
	v_mul_f64 v[168:169], v[150:151], s[14:15]
	v_add_f64 v[0:1], v[162:163], v[0:1]
	v_fma_f64 v[162:163], v[152:153], s[16:17], v[168:169]
	v_fma_f64 v[170:171], v[152:153], s[22:23], v[168:169]
	v_add_f64 v[2:3], v[162:163], v[2:3]
	v_mul_f64 v[162:163], v[156:157], s[18:19]
	v_add_f64 v[170:171], v[170:171], v[234:235]
	v_add_f64 v[234:235], v[228:229], v[226:227]
	v_add_f64 v[226:227], v[228:229], -v[226:227]
	v_fma_f64 v[168:169], v[148:149], s[6:7], v[162:163]
	v_fma_f64 v[162:163], v[148:149], s[6:7], -v[162:163]
	v_add_f64 v[10:11], v[168:169], v[10:11]
	v_mul_f64 v[168:169], v[150:151], s[6:7]
	v_add_f64 v[6:7], v[162:163], v[6:7]
	v_fma_f64 v[162:163], v[152:153], s[18:19], v[168:169]
	v_fma_f64 v[222:223], v[152:153], s[12:13], v[168:169]
	v_add_f64 v[12:13], v[162:163], v[12:13]
	v_mul_f64 v[162:163], v[156:157], s[42:43]
	v_add_f64 v[14:15], v[222:223], v[14:15]
	v_fma_f64 v[168:169], v[148:149], s[30:31], v[162:163]
	v_add_f64 v[254:255], v[168:169], v[18:19]
	v_mul_f64 v[18:19], v[150:151], s[30:31]
	v_fma_f64 v[168:169], v[152:153], s[34:35], v[18:19]
	v_add_f64 v[222:223], v[168:169], v[22:23]
	v_fma_f64 v[22:23], v[148:149], s[30:31], -v[162:163]
	v_add_f64 v[250:251], v[22:23], v[16:17]
	v_fma_f64 v[16:17], v[152:153], s[42:43], v[18:19]
	v_add_f64 v[252:253], v[16:17], v[20:21]
	v_mul_f64 v[16:17], v[156:157], s[4:5]
	v_fma_f64 v[18:19], v[148:149], s[0:1], v[16:17]
	v_fma_f64 v[16:17], v[148:149], s[0:1], -v[16:17]
	v_add_f64 v[248:249], v[18:19], v[26:27]
	v_mul_f64 v[18:19], v[150:151], s[0:1]
	v_add_f64 v[244:245], v[16:17], v[24:25]
	v_fma_f64 v[16:17], v[152:153], s[4:5], v[18:19]
	v_fma_f64 v[20:21], v[152:153], s[40:41], v[18:19]
	v_add_f64 v[246:247], v[16:17], v[28:29]
	v_mul_f64 v[16:17], v[156:157], s[26:27]
	v_add_f64 v[242:243], v[20:21], v[30:31]
	v_fma_f64 v[18:19], v[148:149], s[20:21], v[16:17]
	v_fma_f64 v[16:17], v[148:149], s[20:21], -v[16:17]
	v_add_f64 v[238:239], v[18:19], v[32:33]
	v_mul_f64 v[18:19], v[150:151], s[20:21]
	v_add_f64 v[232:233], v[16:17], v[4:5]
	v_fma_f64 v[4:5], v[152:153], s[26:27], v[18:19]
	v_fma_f64 v[20:21], v[152:153], s[38:39], v[18:19]
	v_add_f64 v[230:231], v[4:5], v[8:9]
	v_mul_f64 v[4:5], v[224:225], s[34:35]
	v_add_f64 v[236:237], v[20:21], v[34:35]
	;; [unrolled: 10-line block ×3, first 2 shown]
	v_fma_f64 v[8:9], v[234:235], s[0:1], v[4:5]
	v_fma_f64 v[4:5], v[234:235], s[0:1], -v[4:5]
	v_add_f64 v[160:161], v[8:9], v[166:167]
	v_mul_f64 v[8:9], v[240:241], s[0:1]
	v_add_f64 v[156:157], v[4:5], v[0:1]
	v_fma_f64 v[0:1], v[226:227], s[4:5], v[8:9]
	v_fma_f64 v[16:17], v[226:227], s[40:41], v[8:9]
	v_mul_f64 v[8:9], v[224:225], s[26:27]
	v_add_f64 v[158:159], v[0:1], v[2:3]
	v_mul_f64 v[0:1], v[224:225], s[28:29]
	v_add_f64 v[162:163], v[16:17], v[170:171]
	v_fma_f64 v[2:3], v[234:235], s[24:25], v[0:1]
	v_fma_f64 v[0:1], v[234:235], s[24:25], -v[0:1]
	v_add_f64 v[168:169], v[2:3], v[10:11]
	v_mul_f64 v[2:3], v[240:241], s[24:25]
	v_add_f64 v[164:165], v[0:1], v[6:7]
	v_mul_f64 v[6:7], v[240:241], s[6:7]
	v_mul_f64 v[10:11], v[240:241], s[20:21]
	v_fma_f64 v[0:1], v[226:227], s[28:29], v[2:3]
	v_fma_f64 v[4:5], v[226:227], s[36:37], v[2:3]
	v_fma_f64 v[2:3], v[226:227], s[18:19], v[6:7]
	v_add_f64 v[166:167], v[0:1], v[12:13]
	v_mul_f64 v[12:13], v[224:225], s[16:17]
	v_add_f64 v[170:171], v[4:5], v[14:15]
	v_mul_f64 v[4:5], v[224:225], s[12:13]
	v_add_f64 v[2:3], v[2:3], v[222:223]
	v_fma_f64 v[14:15], v[234:235], s[14:15], v[12:13]
	v_fma_f64 v[12:13], v[234:235], s[14:15], -v[12:13]
	v_fma_f64 v[0:1], v[234:235], s[6:7], v[4:5]
	v_fma_f64 v[4:5], v[234:235], s[6:7], -v[4:5]
	v_add_f64 v[238:239], v[14:15], v[238:239]
	v_mul_f64 v[14:15], v[240:241], s[14:15]
	v_add_f64 v[224:225], v[12:13], v[232:233]
	v_add_f64 v[220:221], v[4:5], v[250:251]
	v_fma_f64 v[4:5], v[226:227], s[12:13], v[6:7]
	v_fma_f64 v[6:7], v[226:227], s[38:39], v[10:11]
	;; [unrolled: 1-line block ×3, first 2 shown]
	v_add_f64 v[0:1], v[0:1], v[254:255]
	v_fma_f64 v[12:13], v[226:227], s[16:17], v[14:15]
	v_fma_f64 v[16:17], v[226:227], s[22:23], v[14:15]
	v_add_f64 v[222:223], v[4:5], v[252:253]
	v_fma_f64 v[4:5], v[234:235], s[20:21], v[8:9]
	v_fma_f64 v[8:9], v[234:235], s[20:21], -v[8:9]
	v_add_f64 v[6:7], v[6:7], v[242:243]
	v_add_f64 v[10:11], v[10:11], v[246:247]
	;; [unrolled: 1-line block ×3, first 2 shown]
	s_clause 0x3
	buffer_load_dword v12, off, s[48:51], 0 offset:924
	buffer_load_dword v13, off, s[48:51], 0 offset:928
	;; [unrolled: 1-line block ×4, first 2 shown]
	v_add_f64 v[240:241], v[16:17], v[236:237]
	v_add_f64 v[4:5], v[4:5], v[248:249]
	;; [unrolled: 1-line block ×3, first 2 shown]
	s_waitcnt vmcnt(0)
	ds_write_b128 v102, v[12:15]
	ds_write_b128 v102, v[152:155] offset:64
	ds_write_b128 v102, v[160:163] offset:128
	;; [unrolled: 1-line block ×12, first 2 shown]
	s_and_saveexec_b32 s33, vcc_lo
	s_cbranch_execz .LBB0_9
; %bb.8:
	s_clause 0x7
	buffer_load_dword v16, off, s[48:51], 0 offset:24
	buffer_load_dword v17, off, s[48:51], 0 offset:28
	;; [unrolled: 1-line block ×8, first 2 shown]
	v_mul_f64 v[0:1], v[106:107], v[178:179]
	v_mul_f64 v[2:3], v[106:107], v[176:177]
	;; [unrolled: 1-line block ×9, first 2 shown]
	v_fma_f64 v[148:149], v[104:105], v[178:179], -v[2:3]
	v_mul_f64 v[2:3], v[130:131], v[84:85]
	v_fma_f64 v[110:111], v[108:109], v[76:77], v[8:9]
	v_mul_f64 v[8:9], v[122:123], v[90:91]
	v_fma_f64 v[102:103], v[128:129], v[86:87], -v[2:3]
	s_waitcnt vmcnt(4)
	v_mul_f64 v[4:5], v[142:143], v[18:19]
	v_mul_f64 v[6:7], v[142:143], v[16:17]
	s_waitcnt vmcnt(0)
	v_mul_f64 v[12:13], v[118:119], v[32:33]
	v_mul_f64 v[14:15], v[118:119], v[30:31]
	v_fma_f64 v[142:143], v[104:105], v[176:177], v[0:1]
	v_mul_f64 v[0:1], v[130:131], v[86:87]
	v_fma_f64 v[118:119], v[108:109], v[78:79], -v[10:11]
	v_mul_f64 v[10:11], v[114:115], v[72:73]
	v_fma_f64 v[108:109], v[112:113], v[72:73], v[24:25]
	v_fma_f64 v[114:115], v[36:37], v[64:65], v[26:27]
	;; [unrolled: 1-line block ×3, first 2 shown]
	v_fma_f64 v[106:107], v[140:141], v[18:19], -v[6:7]
	v_mul_f64 v[4:5], v[138:139], v[94:95]
	v_mul_f64 v[6:7], v[138:139], v[92:93]
	;; [unrolled: 1-line block ×4, first 2 shown]
	v_fma_f64 v[76:77], v[116:117], v[30:31], v[12:13]
	v_fma_f64 v[78:79], v[116:117], v[32:33], -v[14:15]
	v_mul_f64 v[12:13], v[122:123], v[88:89]
	v_mul_f64 v[14:15], v[38:39], v[64:65]
	;; [unrolled: 1-line block ×3, first 2 shown]
	v_fma_f64 v[0:1], v[128:129], v[84:85], v[0:1]
	v_fma_f64 v[64:65], v[96:97], v[68:69], v[28:29]
	;; [unrolled: 1-line block ×3, first 2 shown]
	v_fma_f64 v[112:113], v[112:113], v[74:75], -v[10:11]
	v_add_f64 v[126:127], v[142:143], -v[104:105]
	v_add_f64 v[116:117], v[148:149], -v[106:107]
	v_fma_f64 v[84:85], v[136:137], v[92:93], v[4:5]
	v_fma_f64 v[86:87], v[136:137], v[94:95], -v[6:7]
	v_fma_f64 v[92:93], v[124:125], v[80:81], v[16:17]
	v_fma_f64 v[80:81], v[132:133], v[172:173], v[18:19]
	v_fma_f64 v[94:95], v[124:125], v[82:83], -v[20:21]
	v_add_f64 v[88:89], v[110:111], -v[76:77]
	v_add_f64 v[124:125], v[148:149], v[106:107]
	v_add_f64 v[122:123], v[142:143], v[104:105]
	v_fma_f64 v[82:83], v[132:133], v[174:175], -v[22:23]
	v_add_f64 v[74:75], v[118:119], -v[78:79]
	v_fma_f64 v[72:73], v[120:121], v[90:91], -v[12:13]
	v_fma_f64 v[10:11], v[36:37], v[66:67], -v[14:15]
	;; [unrolled: 1-line block ×3, first 2 shown]
	v_add_f64 v[12:13], v[118:119], v[78:79]
	v_add_f64 v[22:23], v[114:115], -v[64:65]
	v_add_f64 v[70:71], v[110:111], v[76:77]
	v_add_f64 v[14:15], v[62:63], v[148:149]
	;; [unrolled: 1-line block ×5, first 2 shown]
	v_mul_f64 v[128:129], v[126:127], s[34:35]
	v_mul_f64 v[130:131], v[116:117], s[34:35]
	;; [unrolled: 1-line block ×14, first 2 shown]
	v_add_f64 v[164:165], v[94:95], v[82:83]
	v_add_f64 v[170:171], v[92:93], v[80:81]
	;; [unrolled: 1-line block ×5, first 2 shown]
	v_mul_f64 v[118:119], v[88:89], s[34:35]
	v_add_f64 v[20:21], v[20:21], v[110:111]
	v_mov_b32_e32 v36, v101
	v_fma_f64 v[90:91], v[124:125], s[30:31], v[128:129]
	v_fma_f64 v[96:97], v[122:123], s[30:31], -v[130:131]
	v_fma_f64 v[98:99], v[124:125], s[30:31], -v[128:129]
	v_fma_f64 v[116:117], v[122:123], s[30:31], v[130:131]
	v_fma_f64 v[120:121], v[124:125], s[24:25], v[2:3]
	v_fma_f64 v[126:127], v[122:123], s[24:25], -v[4:5]
	v_fma_f64 v[2:3], v[124:125], s[24:25], -v[2:3]
	v_fma_f64 v[4:5], v[122:123], s[24:25], v[4:5]
	;; [unrolled: 4-line block ×4, first 2 shown]
	v_fma_f64 v[136:137], v[124:125], s[6:7], -v[24:25]
	v_fma_f64 v[138:139], v[124:125], s[0:1], -v[26:27]
	v_fma_f64 v[140:141], v[122:123], s[0:1], v[28:29]
	v_fma_f64 v[24:25], v[124:125], s[6:7], v[24:25]
	;; [unrolled: 1-line block ×4, first 2 shown]
	v_fma_f64 v[34:35], v[122:123], s[6:7], -v[34:35]
	v_fma_f64 v[28:29], v[122:123], s[0:1], -v[28:29]
	v_fma_f64 v[122:123], v[12:13], s[0:1], v[30:31]
	v_add_f64 v[90:91], v[62:63], v[90:91]
	v_add_f64 v[96:97], v[60:61], v[96:97]
	;; [unrolled: 1-line block ×25, first 2 shown]
	v_mul_f64 v[6:7], v[22:23], s[28:29]
	v_add_f64 v[62:63], v[10:11], -v[66:67]
	v_fma_f64 v[2:3], v[70:71], s[0:1], -v[32:33]
	v_add_f64 v[4:5], v[122:123], v[90:91]
	v_add_f64 v[122:123], v[112:113], v[72:73]
	v_fma_f64 v[30:31], v[12:13], s[0:1], -v[30:31]
	v_fma_f64 v[32:33], v[70:71], s[0:1], v[32:33]
	v_add_f64 v[10:11], v[14:15], v[10:11]
	v_add_f64 v[14:15], v[20:21], v[114:115]
	v_mul_f64 v[114:115], v[22:23], s[38:39]
	v_fma_f64 v[8:9], v[60:61], s[24:25], v[6:7]
	v_mul_f64 v[90:91], v[62:63], s[28:29]
	v_add_f64 v[2:3], v[2:3], v[96:97]
	v_add_f64 v[96:97], v[108:109], -v[68:69]
	v_fma_f64 v[6:7], v[60:61], s[24:25], -v[6:7]
	v_add_f64 v[30:31], v[30:31], v[98:99]
	v_add_f64 v[32:33], v[32:33], v[116:117]
	v_mul_f64 v[116:117], v[88:89], s[36:37]
	v_add_f64 v[14:15], v[14:15], v[108:109]
	v_fma_f64 v[108:109], v[12:13], s[30:31], -v[118:119]
	v_add_f64 v[10:11], v[10:11], v[112:113]
	v_add_f64 v[4:5], v[8:9], v[4:5]
	v_fma_f64 v[8:9], v[154:155], s[24:25], -v[90:91]
	v_add_f64 v[6:7], v[6:7], v[30:31]
	v_fma_f64 v[30:31], v[154:155], s[24:25], v[90:91]
	v_mul_f64 v[90:91], v[74:75], s[16:17]
	v_fma_f64 v[110:111], v[12:13], s[24:25], -v[116:117]
	v_add_f64 v[16:17], v[108:109], v[16:17]
	v_add_f64 v[14:15], v[14:15], v[92:93]
	;; [unrolled: 1-line block ×4, first 2 shown]
	v_mul_f64 v[8:9], v[96:97], s[12:13]
	v_add_f64 v[30:31], v[30:31], v[32:33]
	v_fma_f64 v[98:99], v[70:71], s[14:15], -v[90:91]
	v_fma_f64 v[90:91], v[70:71], s[14:15], v[90:91]
	v_add_f64 v[110:111], v[110:111], v[150:151]
	v_add_f64 v[10:11], v[10:11], v[102:103]
	v_fma_f64 v[156:157], v[122:123], s[6:7], v[8:9]
	v_fma_f64 v[8:9], v[122:123], s[6:7], -v[8:9]
	v_add_f64 v[98:99], v[98:99], v[126:127]
	v_mul_f64 v[126:127], v[22:23], s[18:19]
	v_add_f64 v[90:91], v[90:91], v[148:149]
	v_add_f64 v[10:11], v[10:11], v[86:87]
	;; [unrolled: 1-line block ×3, first 2 shown]
	v_add_f64 v[156:157], v[112:113], -v[72:73]
	v_add_f64 v[6:7], v[8:9], v[6:7]
	v_add_f64 v[10:11], v[10:11], v[82:83]
	v_mul_f64 v[160:161], v[156:157], s[12:13]
	v_add_f64 v[10:11], v[10:11], v[72:73]
	v_fma_f64 v[162:163], v[158:159], s[6:7], -v[160:161]
	v_fma_f64 v[8:9], v[158:159], s[6:7], v[160:161]
	v_add_f64 v[10:11], v[10:11], v[66:67]
	v_add_f64 v[2:3], v[162:163], v[2:3]
	v_add_f64 v[162:163], v[92:93], -v[80:81]
	v_add_f64 v[8:9], v[8:9], v[30:31]
	v_fma_f64 v[92:93], v[60:61], s[20:21], -v[114:115]
	v_add_f64 v[10:11], v[10:11], v[78:79]
	v_mul_f64 v[166:167], v[162:163], s[26:27]
	v_add_f64 v[16:17], v[92:93], v[16:17]
	v_fma_f64 v[168:169], v[164:165], s[20:21], v[166:167]
	v_fma_f64 v[30:31], v[164:165], s[20:21], -v[166:167]
	v_add_f64 v[4:5], v[168:169], v[4:5]
	v_add_f64 v[168:169], v[94:95], -v[82:83]
	v_add_f64 v[6:7], v[30:31], v[6:7]
	v_mul_f64 v[94:95], v[162:163], s[18:19]
	v_mul_f64 v[82:83], v[22:23], s[34:35]
	v_mul_f64 v[172:173], v[168:169], s[26:27]
	v_fma_f64 v[174:175], v[170:171], s[20:21], -v[172:173]
	v_fma_f64 v[30:31], v[170:171], s[20:21], v[172:173]
	v_add_f64 v[2:3], v[174:175], v[2:3]
	v_add_f64 v[174:175], v[0:1], -v[84:85]
	v_add_f64 v[30:31], v[30:31], v[8:9]
	v_add_f64 v[0:1], v[14:15], v[0:1]
	v_mul_f64 v[178:179], v[174:175], s[16:17]
	v_add_f64 v[0:1], v[0:1], v[84:85]
	v_fma_f64 v[220:221], v[176:177], s[14:15], v[178:179]
	v_fma_f64 v[8:9], v[176:177], s[14:15], -v[178:179]
	v_add_f64 v[0:1], v[0:1], v[80:81]
	v_mul_f64 v[80:81], v[62:63], s[22:23]
	v_add_f64 v[4:5], v[220:221], v[4:5]
	v_add_f64 v[220:221], v[102:103], -v[86:87]
	v_add_f64 v[8:9], v[8:9], v[6:7]
	v_mul_f64 v[86:87], v[88:89], s[18:19]
	v_add_f64 v[0:1], v[0:1], v[68:69]
	v_mul_f64 v[224:225], v[220:221], s[16:17]
	;; [unrolled: 2-line block ×3, first 2 shown]
	v_fma_f64 v[32:33], v[222:223], s[14:15], v[224:225]
	v_fma_f64 v[226:227], v[222:223], s[14:15], -v[224:225]
	v_add_f64 v[0:1], v[0:1], v[76:77]
	v_add_f64 v[6:7], v[32:33], v[30:31]
	v_mul_f64 v[30:31], v[88:89], s[16:17]
	v_add_f64 v[2:3], v[226:227], v[2:3]
	v_fma_f64 v[32:33], v[12:13], s[14:15], v[30:31]
	v_fma_f64 v[30:31], v[12:13], s[14:15], -v[30:31]
	v_add_f64 v[32:33], v[32:33], v[120:121]
	v_fma_f64 v[120:121], v[12:13], s[24:25], v[116:117]
	v_add_f64 v[30:31], v[30:31], v[142:143]
	v_add_f64 v[120:121], v[120:121], v[128:129]
	v_fma_f64 v[128:129], v[60:61], s[6:7], v[126:127]
	v_fma_f64 v[126:127], v[60:61], s[6:7], -v[126:127]
	v_add_f64 v[32:33], v[128:129], v[32:33]
	v_mul_f64 v[128:129], v[62:63], s[18:19]
	v_add_f64 v[30:31], v[126:127], v[30:31]
	v_mul_f64 v[126:127], v[96:97], s[42:43]
	v_fma_f64 v[142:143], v[154:155], s[6:7], -v[128:129]
	v_fma_f64 v[128:129], v[154:155], s[6:7], v[128:129]
	v_add_f64 v[98:99], v[142:143], v[98:99]
	v_fma_f64 v[142:143], v[122:123], s[30:31], v[126:127]
	v_fma_f64 v[126:127], v[122:123], s[30:31], -v[126:127]
	v_add_f64 v[90:91], v[128:129], v[90:91]
	v_mul_f64 v[128:129], v[22:23], s[4:5]
	v_mul_f64 v[22:23], v[22:23], s[22:23]
	v_add_f64 v[32:33], v[142:143], v[32:33]
	v_mul_f64 v[142:143], v[156:157], s[42:43]
	v_add_f64 v[30:31], v[126:127], v[30:31]
	v_mul_f64 v[126:127], v[162:163], s[4:5]
	v_fma_f64 v[20:21], v[60:61], s[0:1], -v[128:129]
	v_fma_f64 v[148:149], v[158:159], s[30:31], -v[142:143]
	v_fma_f64 v[142:143], v[158:159], s[30:31], v[142:143]
	v_add_f64 v[20:21], v[20:21], v[110:111]
	v_add_f64 v[98:99], v[148:149], v[98:99]
	v_fma_f64 v[148:149], v[164:165], s[0:1], v[126:127]
	v_fma_f64 v[126:127], v[164:165], s[0:1], -v[126:127]
	v_add_f64 v[90:91], v[142:143], v[90:91]
	v_add_f64 v[32:33], v[148:149], v[32:33]
	v_mul_f64 v[148:149], v[168:169], s[4:5]
	v_add_f64 v[30:31], v[126:127], v[30:31]
	v_mul_f64 v[126:127], v[74:75], s[36:37]
	v_fma_f64 v[160:161], v[170:171], s[0:1], -v[148:149]
	v_fma_f64 v[148:149], v[170:171], s[0:1], v[148:149]
	v_fma_f64 v[116:117], v[70:71], s[24:25], v[126:127]
	v_add_f64 v[98:99], v[160:161], v[98:99]
	v_fma_f64 v[160:161], v[70:71], s[24:25], -v[126:127]
	v_fma_f64 v[126:127], v[12:13], s[30:31], v[118:119]
	v_add_f64 v[116:117], v[116:117], v[152:153]
	v_add_f64 v[90:91], v[148:149], v[90:91]
	;; [unrolled: 1-line block ×4, first 2 shown]
	v_fma_f64 v[132:133], v[60:61], s[0:1], v[128:129]
	v_add_f64 v[120:121], v[132:133], v[120:121]
	v_mul_f64 v[132:133], v[74:75], s[34:35]
	v_fma_f64 v[150:151], v[70:71], s[30:31], -v[132:133]
	v_add_f64 v[134:135], v[150:151], v[134:135]
	v_mul_f64 v[150:151], v[62:63], s[4:5]
	v_fma_f64 v[110:111], v[154:155], s[0:1], v[150:151]
	v_fma_f64 v[152:153], v[154:155], s[0:1], -v[150:151]
	v_add_f64 v[110:111], v[110:111], v[116:117]
	v_fma_f64 v[116:117], v[60:61], s[20:21], v[114:115]
	v_add_f64 v[130:131], v[152:153], v[130:131]
	v_add_f64 v[116:117], v[116:117], v[126:127]
	v_mul_f64 v[126:127], v[96:97], s[22:23]
	v_fma_f64 v[128:129], v[122:123], s[14:15], v[126:127]
	v_fma_f64 v[108:109], v[122:123], s[14:15], -v[126:127]
	v_add_f64 v[120:121], v[128:129], v[120:121]
	v_mul_f64 v[128:129], v[62:63], s[38:39]
	v_add_f64 v[20:21], v[108:109], v[20:21]
	v_mul_f64 v[62:63], v[62:63], s[34:35]
	v_fma_f64 v[142:143], v[154:155], s[20:21], -v[128:129]
	v_add_f64 v[134:135], v[142:143], v[134:135]
	v_mul_f64 v[142:143], v[156:157], s[22:23]
	v_fma_f64 v[108:109], v[158:159], s[14:15], v[142:143]
	v_fma_f64 v[150:151], v[158:159], s[14:15], -v[142:143]
	v_add_f64 v[108:109], v[108:109], v[110:111]
	v_mul_f64 v[110:111], v[96:97], s[4:5]
	v_add_f64 v[130:131], v[150:151], v[130:131]
	v_fma_f64 v[112:113], v[122:123], s[0:1], v[110:111]
	v_fma_f64 v[14:15], v[122:123], s[0:1], -v[110:111]
	v_add_f64 v[112:113], v[112:113], v[116:117]
	v_mul_f64 v[116:117], v[162:163], s[42:43]
	v_add_f64 v[14:15], v[14:15], v[16:17]
	v_fma_f64 v[16:17], v[154:155], s[20:21], v[128:129]
	v_fma_f64 v[118:119], v[164:165], s[30:31], v[116:117]
	v_fma_f64 v[92:93], v[164:165], s[30:31], -v[116:117]
	v_fma_f64 v[116:117], v[154:155], s[30:31], v[62:63]
	v_fma_f64 v[62:63], v[154:155], s[30:31], -v[62:63]
	v_add_f64 v[118:119], v[118:119], v[120:121]
	v_mul_f64 v[120:121], v[156:157], s[4:5]
	v_add_f64 v[20:21], v[92:93], v[20:21]
	v_fma_f64 v[92:93], v[70:71], s[30:31], v[132:133]
	v_fma_f64 v[126:127], v[158:159], s[0:1], -v[120:121]
	v_add_f64 v[18:19], v[92:93], v[18:19]
	v_add_f64 v[126:127], v[126:127], v[134:135]
	v_mul_f64 v[134:135], v[168:169], s[42:43]
	v_add_f64 v[16:17], v[16:17], v[18:19]
	v_mul_f64 v[18:19], v[88:89], s[26:27]
	v_fma_f64 v[88:89], v[12:13], s[6:7], -v[86:87]
	v_fma_f64 v[92:93], v[170:171], s[30:31], v[134:135]
	v_fma_f64 v[142:143], v[170:171], s[30:31], -v[134:135]
	v_fma_f64 v[84:85], v[12:13], s[20:21], -v[18:19]
	v_fma_f64 v[18:19], v[12:13], s[20:21], v[18:19]
	v_fma_f64 v[12:13], v[12:13], s[6:7], v[86:87]
	v_mul_f64 v[86:87], v[74:75], s[26:27]
	v_mul_f64 v[74:75], v[74:75], s[18:19]
	v_add_f64 v[92:93], v[92:93], v[108:109]
	v_fma_f64 v[108:109], v[164:165], s[6:7], v[94:95]
	v_fma_f64 v[94:95], v[164:165], s[6:7], -v[94:95]
	v_add_f64 v[18:19], v[18:19], v[24:25]
	v_add_f64 v[12:13], v[12:13], v[26:27]
	v_fma_f64 v[101:102], v[70:71], s[20:21], v[86:87]
	v_fma_f64 v[86:87], v[70:71], s[20:21], -v[86:87]
	v_fma_f64 v[110:111], v[70:71], s[6:7], v[74:75]
	v_fma_f64 v[70:71], v[70:71], s[6:7], -v[74:75]
	v_add_f64 v[74:75], v[84:85], v[136:137]
	v_add_f64 v[84:85], v[88:89], v[138:139]
	v_mul_f64 v[26:27], v[96:97], s[36:37]
	v_mul_f64 v[96:97], v[96:97], s[26:27]
	v_add_f64 v[130:131], v[142:143], v[130:131]
	v_add_f64 v[108:109], v[108:109], v[112:113]
	v_mul_f64 v[112:113], v[168:169], s[18:19]
	v_add_f64 v[14:15], v[94:95], v[14:15]
	v_fma_f64 v[94:95], v[176:177], s[24:25], -v[64:65]
	v_add_f64 v[101:102], v[101:102], v[124:125]
	v_add_f64 v[24:25], v[86:87], v[34:35]
	v_fma_f64 v[34:35], v[60:61], s[30:31], -v[82:83]
	v_fma_f64 v[82:83], v[60:61], s[30:31], v[82:83]
	v_fma_f64 v[86:87], v[60:61], s[14:15], -v[22:23]
	v_fma_f64 v[22:23], v[60:61], s[14:15], v[22:23]
	v_mul_f64 v[60:61], v[174:175], s[26:27]
	v_add_f64 v[88:89], v[110:111], v[140:141]
	v_fma_f64 v[110:111], v[154:155], s[14:15], v[80:81]
	v_fma_f64 v[80:81], v[154:155], s[14:15], -v[80:81]
	v_add_f64 v[28:29], v[70:71], v[28:29]
	v_mul_f64 v[70:71], v[220:221], s[26:27]
	v_fma_f64 v[68:69], v[122:123], s[24:25], -v[26:27]
	v_fma_f64 v[26:27], v[122:123], s[24:25], v[26:27]
	v_mul_f64 v[124:125], v[156:157], s[26:27]
	v_fma_f64 v[114:115], v[170:171], s[6:7], -v[112:113]
	v_fma_f64 v[112:113], v[170:171], s[6:7], v[112:113]
	v_add_f64 v[78:79], v[94:95], v[14:15]
	v_add_f64 v[24:25], v[62:63], v[24:25]
	v_add_f64 v[34:35], v[34:35], v[74:75]
	v_add_f64 v[18:19], v[82:83], v[18:19]
	v_add_f64 v[74:75], v[86:87], v[84:85]
	v_fma_f64 v[86:87], v[122:123], s[20:21], -v[96:97]
	v_fma_f64 v[72:73], v[176:177], s[20:21], v[60:61]
	v_fma_f64 v[96:97], v[122:123], s[20:21], v[96:97]
	v_add_f64 v[84:85], v[110:111], v[88:89]
	v_add_f64 v[88:89], v[116:117], v[101:102]
	;; [unrolled: 1-line block ×3, first 2 shown]
	v_fma_f64 v[122:123], v[222:223], s[20:21], -v[70:71]
	v_add_f64 v[28:29], v[80:81], v[28:29]
	v_mul_f64 v[80:81], v[162:163], s[16:17]
	v_fma_f64 v[101:102], v[158:159], s[20:21], v[124:125]
	v_fma_f64 v[110:111], v[158:159], s[0:1], v[120:121]
	v_fma_f64 v[120:121], v[158:159], s[20:21], -v[124:125]
	v_fma_f64 v[124:125], v[176:177], s[20:21], -v[60:61]
	v_mul_f64 v[60:61], v[162:163], s[28:29]
	v_add_f64 v[114:115], v[114:115], v[126:127]
	v_mul_f64 v[126:127], v[156:157], s[36:37]
	v_mul_f64 v[82:83], v[174:175], s[12:13]
	v_add_f64 v[34:35], v[68:69], v[34:35]
	v_add_f64 v[18:19], v[26:27], v[18:19]
	v_mul_f64 v[68:69], v[168:169], s[28:29]
	v_add_f64 v[62:63], v[72:73], v[32:33]
	v_fma_f64 v[32:33], v[222:223], s[20:21], v[70:71]
	v_add_f64 v[70:71], v[86:87], v[74:75]
	v_mul_f64 v[74:75], v[168:169], s[16:17]
	v_add_f64 v[12:13], v[96:97], v[12:13]
	v_mul_f64 v[72:73], v[220:221], s[12:13]
	v_fma_f64 v[26:27], v[164:165], s[14:15], -v[80:81]
	v_add_f64 v[66:67], v[101:102], v[84:85]
	v_mul_f64 v[84:85], v[220:221], s[28:29]
	v_add_f64 v[16:17], v[110:111], v[16:17]
	v_mul_f64 v[101:102], v[220:221], s[4:5]
	v_fma_f64 v[110:111], v[164:165], s[24:25], -v[60:61]
	v_fma_f64 v[80:81], v[164:165], s[14:15], v[80:81]
	v_fma_f64 v[22:23], v[158:159], s[24:25], v[126:127]
	v_fma_f64 v[116:117], v[158:159], s[24:25], -v[126:127]
	v_mul_f64 v[126:127], v[220:221], s[34:35]
	v_fma_f64 v[60:61], v[164:165], s[24:25], v[60:61]
	v_add_f64 v[28:29], v[120:121], v[28:29]
	v_fma_f64 v[86:87], v[176:177], s[6:7], v[82:83]
	v_fma_f64 v[128:129], v[170:171], s[24:25], v[68:69]
	v_fma_f64 v[68:69], v[170:171], s[24:25], -v[68:69]
	v_fma_f64 v[82:83], v[176:177], s[6:7], -v[82:83]
	v_fma_f64 v[120:121], v[176:177], s[24:25], v[64:65]
	v_add_f64 v[64:65], v[32:33], v[90:91]
	v_fma_f64 v[96:97], v[170:171], s[14:15], v[74:75]
	v_fma_f64 v[74:75], v[170:171], s[14:15], -v[74:75]
	v_fma_f64 v[132:133], v[222:223], s[6:7], -v[72:73]
	v_fma_f64 v[72:73], v[222:223], s[6:7], v[72:73]
	v_add_f64 v[26:27], v[26:27], v[34:35]
	v_add_f64 v[90:91], v[10:11], v[106:107]
	v_fma_f64 v[134:135], v[222:223], s[24:25], -v[84:85]
	v_fma_f64 v[136:137], v[222:223], s[24:25], v[84:85]
	v_add_f64 v[16:17], v[112:113], v[16:17]
	v_add_f64 v[84:85], v[110:111], v[70:71]
	v_fma_f64 v[110:111], v[222:223], s[0:1], v[101:102]
	v_add_f64 v[22:23], v[22:23], v[88:89]
	v_mul_f64 v[88:89], v[174:175], s[4:5]
	v_add_f64 v[24:25], v[116:117], v[24:25]
	v_mul_f64 v[116:117], v[174:175], s[34:35]
	v_fma_f64 v[76:77], v[222:223], s[30:31], v[126:127]
	v_add_f64 v[18:19], v[80:81], v[18:19]
	v_add_f64 v[128:129], v[128:129], v[66:67]
	v_fma_f64 v[101:102], v[222:223], s[0:1], -v[101:102]
	v_add_f64 v[12:13], v[60:61], v[12:13]
	v_add_f64 v[28:29], v[68:69], v[28:29]
	;; [unrolled: 1-line block ×10, first 2 shown]
	v_fma_f64 v[34:35], v[176:177], s[0:1], -v[88:89]
	v_fma_f64 v[96:97], v[176:177], s[0:1], v[88:89]
	v_add_f64 v[88:89], v[0:1], v[104:105]
	buffer_load_dword v1, off, s[48:51], 0 offset:4 ; 4-byte Folded Reload
	v_fma_f64 v[138:139], v[176:177], s[30:31], -v[116:117]
	v_add_f64 v[24:25], v[74:75], v[24:25]
	v_fma_f64 v[112:113], v[176:177], s[30:31], v[116:117]
	v_fma_f64 v[116:117], v[222:223], s[30:31], -v[126:127]
	v_add_f64 v[74:75], v[82:83], v[20:21]
	v_mul_u32_u24_e32 v0, 52, v36
	v_add_f64 v[80:81], v[110:111], v[22:23]
	v_add_f64 v[82:83], v[34:35], v[26:27]
	;; [unrolled: 1-line block ×9, first 2 shown]
	s_waitcnt vmcnt(0)
	v_or_b32_e32 v0, v0, v1
	v_lshlrev_b32_e32 v0, 4, v0
	ds_write_b128 v0, v[88:91]
	ds_write_b128 v0, v[84:87] offset:64
	ds_write_b128 v0, v[80:83] offset:128
	;; [unrolled: 1-line block ×12, first 2 shown]
.LBB0_9:
	s_or_b32 exec_lo, exec_lo, s33
	s_waitcnt lgkmcnt(0)
	s_barrier
	buffer_gl0_inv
	ds_read_b128 v[0:3], v100 offset:9984
	ds_read_b128 v[4:7], v100 offset:10816
	s_mov_b32 s0, 0xe8584caa
	s_mov_b32 s1, 0xbfebb67a
	;; [unrolled: 1-line block ×4, first 2 shown]
	s_waitcnt lgkmcnt(1)
	v_mul_f64 v[8:9], v[146:147], v[2:3]
	v_fma_f64 v[8:9], v[144:145], v[0:1], v[8:9]
	v_mul_f64 v[0:1], v[146:147], v[0:1]
	v_fma_f64 v[10:11], v[144:145], v[2:3], -v[0:1]
	s_waitcnt lgkmcnt(0)
	v_mul_f64 v[0:1], v[146:147], v[6:7]
	v_fma_f64 v[12:13], v[144:145], v[4:5], v[0:1]
	v_mul_f64 v[0:1], v[146:147], v[4:5]
	v_fma_f64 v[14:15], v[144:145], v[6:7], -v[0:1]
	ds_read_b128 v[0:3], v100 offset:11648
	ds_read_b128 v[4:7], v100 offset:12480
	s_clause 0x7
	buffer_load_dword v18, off, s[48:51], 0 offset:476
	buffer_load_dword v19, off, s[48:51], 0 offset:480
	;; [unrolled: 1-line block ×8, first 2 shown]
	s_waitcnt vmcnt(4) lgkmcnt(1)
	v_mul_f64 v[16:17], v[20:21], v[2:3]
	v_fma_f64 v[16:17], v[18:19], v[0:1], v[16:17]
	v_mul_f64 v[0:1], v[20:21], v[0:1]
	v_fma_f64 v[18:19], v[18:19], v[2:3], -v[0:1]
	s_waitcnt vmcnt(0) lgkmcnt(0)
	v_mul_f64 v[0:1], v[24:25], v[6:7]
	v_fma_f64 v[20:21], v[22:23], v[4:5], v[0:1]
	v_mul_f64 v[0:1], v[24:25], v[4:5]
	v_fma_f64 v[22:23], v[22:23], v[6:7], -v[0:1]
	ds_read_b128 v[0:3], v100 offset:13312
	ds_read_b128 v[4:7], v100 offset:14144
	s_clause 0x7
	buffer_load_dword v26, off, s[48:51], 0 offset:524
	buffer_load_dword v27, off, s[48:51], 0 offset:528
	;; [unrolled: 1-line block ×8, first 2 shown]
	s_waitcnt vmcnt(4) lgkmcnt(1)
	v_mul_f64 v[24:25], v[28:29], v[2:3]
	v_fma_f64 v[24:25], v[26:27], v[0:1], v[24:25]
	v_mul_f64 v[0:1], v[28:29], v[0:1]
	v_fma_f64 v[26:27], v[26:27], v[2:3], -v[0:1]
	s_waitcnt vmcnt(0) lgkmcnt(0)
	v_mul_f64 v[0:1], v[32:33], v[6:7]
	v_fma_f64 v[28:29], v[30:31], v[4:5], v[0:1]
	v_mul_f64 v[0:1], v[32:33], v[4:5]
	v_fma_f64 v[30:31], v[30:31], v[6:7], -v[0:1]
	ds_read_b128 v[0:3], v100 offset:14976
	ds_read_b128 v[4:7], v100 offset:15808
	s_clause 0x3
	buffer_load_dword v34, off, s[48:51], 0 offset:540
	buffer_load_dword v35, off, s[48:51], 0 offset:544
	;; [unrolled: 1-line block ×4, first 2 shown]
	s_waitcnt vmcnt(0) lgkmcnt(1)
	v_mul_f64 v[32:33], v[36:37], v[2:3]
	v_fma_f64 v[32:33], v[34:35], v[0:1], v[32:33]
	v_mul_f64 v[0:1], v[36:37], v[0:1]
	s_clause 0x3
	buffer_load_dword v36, off, s[48:51], 0 offset:556
	buffer_load_dword v37, off, s[48:51], 0 offset:560
	;; [unrolled: 1-line block ×4, first 2 shown]
	v_fma_f64 v[34:35], v[34:35], v[2:3], -v[0:1]
	s_waitcnt vmcnt(0) lgkmcnt(0)
	v_mul_f64 v[0:1], v[38:39], v[6:7]
	v_fma_f64 v[109:110], v[36:37], v[4:5], v[0:1]
	v_mul_f64 v[0:1], v[38:39], v[4:5]
	v_fma_f64 v[111:112], v[36:37], v[6:7], -v[0:1]
	ds_read_b128 v[0:3], v100 offset:16640
	ds_read_b128 v[4:7], v100 offset:17472
	s_clause 0x3
	buffer_load_dword v36, off, s[48:51], 0 offset:604
	buffer_load_dword v37, off, s[48:51], 0 offset:608
	;; [unrolled: 1-line block ×4, first 2 shown]
	s_waitcnt vmcnt(0) lgkmcnt(1)
	v_mul_f64 v[60:61], v[38:39], v[2:3]
	v_fma_f64 v[113:114], v[36:37], v[0:1], v[60:61]
	v_mul_f64 v[0:1], v[38:39], v[0:1]
	v_fma_f64 v[115:116], v[36:37], v[2:3], -v[0:1]
	s_clause 0x3
	buffer_load_dword v36, off, s[48:51], 0 offset:620
	buffer_load_dword v37, off, s[48:51], 0 offset:624
	;; [unrolled: 1-line block ×4, first 2 shown]
	s_waitcnt vmcnt(0) lgkmcnt(0)
	v_mul_f64 v[0:1], v[38:39], v[6:7]
	v_fma_f64 v[117:118], v[36:37], v[4:5], v[0:1]
	v_mul_f64 v[0:1], v[38:39], v[4:5]
	v_fma_f64 v[119:120], v[36:37], v[6:7], -v[0:1]
	ds_read_b128 v[0:3], v100 offset:18304
	ds_read_b128 v[4:7], v100 offset:19136
	s_clause 0x3
	buffer_load_dword v36, off, s[48:51], 0 offset:684
	buffer_load_dword v37, off, s[48:51], 0 offset:688
	;; [unrolled: 1-line block ×4, first 2 shown]
	s_waitcnt vmcnt(0) lgkmcnt(1)
	v_mul_f64 v[60:61], v[38:39], v[2:3]
	v_fma_f64 v[121:122], v[36:37], v[0:1], v[60:61]
	v_mul_f64 v[0:1], v[38:39], v[0:1]
	v_fma_f64 v[123:124], v[36:37], v[2:3], -v[0:1]
	s_clause 0x3
	buffer_load_dword v36, off, s[48:51], 0 offset:668
	buffer_load_dword v37, off, s[48:51], 0 offset:672
	;; [unrolled: 1-line block ×4, first 2 shown]
	s_waitcnt vmcnt(0) lgkmcnt(0)
	v_mul_f64 v[0:1], v[38:39], v[6:7]
	v_fma_f64 v[125:126], v[36:37], v[4:5], v[0:1]
	v_mul_f64 v[0:1], v[38:39], v[4:5]
	v_fma_f64 v[127:128], v[36:37], v[6:7], -v[0:1]
	ds_read_b128 v[0:3], v100
	ds_read_b128 v[4:7], v100 offset:832
	ds_read_b128 v[64:67], v100 offset:1664
	;; [unrolled: 1-line block ×11, first 2 shown]
	s_waitcnt lgkmcnt(0)
	s_barrier
	buffer_gl0_inv
	v_add_f64 v[8:9], v[0:1], -v[8:9]
	v_add_f64 v[10:11], v[2:3], -v[10:11]
	;; [unrolled: 1-line block ×6, first 2 shown]
	v_fma_f64 v[0:1], v[0:1], 2.0, -v[8:9]
	v_fma_f64 v[2:3], v[2:3], 2.0, -v[10:11]
	;; [unrolled: 1-line block ×4, first 2 shown]
	ds_write_b128 v100, v[8:11] offset:832
	ds_write_b128 v100, v[60:63] offset:2496
	ds_write_b128 v100, v[0:3]
	ds_write_b128 v100, v[4:7] offset:1664
	buffer_load_dword v0, off, s[48:51], 0 offset:464 ; 4-byte Folded Reload
	v_fma_f64 v[64:65], v[64:65], 2.0, -v[72:73]
	v_fma_f64 v[66:67], v[66:67], 2.0, -v[74:75]
	v_add_f64 v[2:3], v[70:71], -v[22:23]
	s_waitcnt vmcnt(0)
	ds_write_b128 v0, v[64:67] offset:3328
	ds_write_b128 v0, v[72:75] offset:4160
	buffer_load_dword v8, off, s[48:51], 0 offset:460 ; 4-byte Folded Reload
	v_add_f64 v[0:1], v[68:69], -v[20:21]
	v_fma_f64 v[6:7], v[70:71], 2.0, -v[2:3]
	v_fma_f64 v[4:5], v[68:69], 2.0, -v[0:1]
	s_waitcnt vmcnt(0)
	ds_write_b128 v8, v[4:7] offset:4992
	ds_write_b128 v8, v[0:3] offset:5824
	buffer_load_dword v8, off, s[48:51], 0 offset:456 ; 4-byte Folded Reload
	v_add_f64 v[0:1], v[76:77], -v[24:25]
	v_add_f64 v[2:3], v[78:79], -v[26:27]
	v_fma_f64 v[4:5], v[76:77], 2.0, -v[0:1]
	v_fma_f64 v[6:7], v[78:79], 2.0, -v[2:3]
	s_waitcnt vmcnt(0)
	ds_write_b128 v8, v[4:7] offset:6656
	ds_write_b128 v8, v[0:3] offset:7488
	buffer_load_dword v8, off, s[48:51], 0 offset:452 ; 4-byte Folded Reload
	v_add_f64 v[0:1], v[80:81], -v[28:29]
	;; [unrolled: 8-line block ×8, first 2 shown]
	v_add_f64 v[2:3], v[107:108], -v[127:128]
	v_fma_f64 v[4:5], v[105:106], 2.0, -v[0:1]
	v_fma_f64 v[6:7], v[107:108], 2.0, -v[2:3]
	s_waitcnt vmcnt(0)
	ds_write_b128 v8, v[4:7] offset:18304
	ds_write_b128 v8, v[0:3] offset:19136
	s_waitcnt lgkmcnt(0)
	s_barrier
	buffer_gl0_inv
	ds_read_b128 v[0:3], v100 offset:6656
	ds_read_b128 v[4:7], v100 offset:7488
	s_waitcnt lgkmcnt(1)
	v_mul_f64 v[8:9], v[186:187], v[2:3]
	v_fma_f64 v[12:13], v[184:185], v[0:1], v[8:9]
	v_mul_f64 v[0:1], v[186:187], v[0:1]
	v_fma_f64 v[14:15], v[184:185], v[2:3], -v[0:1]
	ds_read_b128 v[0:3], v100 offset:8320
	ds_read_b128 v[8:11], v100 offset:9152
	s_waitcnt lgkmcnt(1)
	v_mul_f64 v[16:17], v[186:187], v[2:3]
	v_fma_f64 v[16:17], v[184:185], v[0:1], v[16:17]
	v_mul_f64 v[0:1], v[186:187], v[0:1]
	v_fma_f64 v[18:19], v[184:185], v[2:3], -v[0:1]
	;; [unrolled: 7-line block ×4, first 2 shown]
	v_mul_f64 v[0:1], v[218:219], v[6:7]
	v_fma_f64 v[28:29], v[216:217], v[4:5], v[0:1]
	v_mul_f64 v[0:1], v[218:219], v[4:5]
	v_fma_f64 v[30:31], v[216:217], v[6:7], -v[0:1]
	v_mul_f64 v[0:1], v[218:219], v[10:11]
	v_fma_f64 v[32:33], v[216:217], v[8:9], v[0:1]
	v_mul_f64 v[0:1], v[218:219], v[8:9]
	v_fma_f64 v[34:35], v[216:217], v[10:11], -v[0:1]
	;; [unrolled: 4-line block ×3, first 2 shown]
	s_waitcnt lgkmcnt(0)
	v_mul_f64 v[0:1], v[214:215], v[66:67]
	v_fma_f64 v[84:85], v[212:213], v[64:65], v[0:1]
	v_mul_f64 v[0:1], v[214:215], v[64:65]
	v_fma_f64 v[86:87], v[212:213], v[66:67], -v[0:1]
	ds_read_b128 v[0:3], v100 offset:9984
	ds_read_b128 v[4:7], v100 offset:10816
	s_clause 0x3
	buffer_load_dword v36, off, s[48:51], 0 offset:652
	buffer_load_dword v37, off, s[48:51], 0 offset:656
	;; [unrolled: 1-line block ×4, first 2 shown]
	s_waitcnt vmcnt(0) lgkmcnt(1)
	v_mul_f64 v[8:9], v[38:39], v[2:3]
	v_fma_f64 v[101:102], v[36:37], v[0:1], v[8:9]
	v_mul_f64 v[0:1], v[38:39], v[0:1]
	v_fma_f64 v[103:104], v[36:37], v[2:3], -v[0:1]
	ds_read_b128 v[0:3], v100 offset:16640
	ds_read_b128 v[8:11], v100 offset:17472
	s_clause 0x3
	buffer_load_dword v36, off, s[48:51], 0 offset:636
	buffer_load_dword v37, off, s[48:51], 0 offset:640
	;; [unrolled: 1-line block ×4, first 2 shown]
	s_waitcnt vmcnt(0) lgkmcnt(1)
	v_mul_f64 v[62:63], v[38:39], v[2:3]
	v_fma_f64 v[105:106], v[36:37], v[0:1], v[62:63]
	v_mul_f64 v[0:1], v[38:39], v[0:1]
	v_fma_f64 v[107:108], v[36:37], v[2:3], -v[0:1]
	s_clause 0x3
	buffer_load_dword v36, off, s[48:51], 0 offset:748
	buffer_load_dword v37, off, s[48:51], 0 offset:752
	;; [unrolled: 1-line block ×4, first 2 shown]
	s_waitcnt vmcnt(0)
	v_mul_f64 v[0:1], v[38:39], v[6:7]
	v_fma_f64 v[117:118], v[36:37], v[4:5], v[0:1]
	v_mul_f64 v[0:1], v[38:39], v[4:5]
	s_clause 0x3
	buffer_load_dword v2, off, s[48:51], 0 offset:732
	buffer_load_dword v3, off, s[48:51], 0 offset:736
	;; [unrolled: 1-line block ×4, first 2 shown]
	v_fma_f64 v[119:120], v[36:37], v[6:7], -v[0:1]
	s_waitcnt vmcnt(0) lgkmcnt(0)
	v_mul_f64 v[0:1], v[4:5], v[10:11]
	v_fma_f64 v[121:122], v[2:3], v[8:9], v[0:1]
	v_mul_f64 v[0:1], v[4:5], v[8:9]
	v_fma_f64 v[123:124], v[2:3], v[10:11], -v[0:1]
	ds_read_b128 v[0:3], v100 offset:11648
	ds_read_b128 v[4:7], v100 offset:12480
	s_clause 0x3
	buffer_load_dword v36, off, s[48:51], 0 offset:716
	buffer_load_dword v37, off, s[48:51], 0 offset:720
	;; [unrolled: 1-line block ×4, first 2 shown]
	s_waitcnt vmcnt(0) lgkmcnt(1)
	v_mul_f64 v[8:9], v[38:39], v[2:3]
	v_fma_f64 v[125:126], v[36:37], v[0:1], v[8:9]
	v_mul_f64 v[0:1], v[38:39], v[0:1]
	v_fma_f64 v[127:128], v[36:37], v[2:3], -v[0:1]
	ds_read_b128 v[0:3], v100 offset:18304
	ds_read_b128 v[8:11], v100 offset:19136
	s_clause 0x3
	buffer_load_dword v36, off, s[48:51], 0 offset:700
	buffer_load_dword v37, off, s[48:51], 0 offset:704
	;; [unrolled: 1-line block ×4, first 2 shown]
	s_waitcnt vmcnt(0) lgkmcnt(1)
	v_mul_f64 v[62:63], v[38:39], v[2:3]
	v_fma_f64 v[129:130], v[36:37], v[0:1], v[62:63]
	v_mul_f64 v[0:1], v[38:39], v[0:1]
	v_fma_f64 v[131:132], v[36:37], v[2:3], -v[0:1]
	s_clause 0x3
	buffer_load_dword v36, off, s[48:51], 0 offset:828
	buffer_load_dword v37, off, s[48:51], 0 offset:832
	;; [unrolled: 1-line block ×4, first 2 shown]
	s_waitcnt vmcnt(0)
	v_mul_f64 v[0:1], v[38:39], v[6:7]
	v_fma_f64 v[133:134], v[36:37], v[4:5], v[0:1]
	v_mul_f64 v[0:1], v[38:39], v[4:5]
	s_clause 0x3
	buffer_load_dword v2, off, s[48:51], 0 offset:764
	buffer_load_dword v3, off, s[48:51], 0 offset:768
	;; [unrolled: 1-line block ×4, first 2 shown]
	v_fma_f64 v[135:136], v[36:37], v[6:7], -v[0:1]
	s_waitcnt vmcnt(0) lgkmcnt(0)
	v_mul_f64 v[0:1], v[4:5], v[10:11]
	v_fma_f64 v[137:138], v[2:3], v[8:9], v[0:1]
	v_mul_f64 v[0:1], v[4:5], v[8:9]
	v_add_f64 v[8:9], v[12:13], v[20:21]
	v_fma_f64 v[139:140], v[2:3], v[10:11], -v[0:1]
	ds_read_b128 v[0:3], v100
	ds_read_b128 v[4:7], v100 offset:832
	s_waitcnt lgkmcnt(1)
	v_fma_f64 v[10:11], v[8:9], -0.5, v[0:1]
	v_add_f64 v[8:9], v[14:15], v[22:23]
	v_add_f64 v[0:1], v[0:1], v[12:13]
	v_add_f64 v[12:13], v[12:13], -v[20:21]
	v_fma_f64 v[62:63], v[8:9], -0.5, v[2:3]
	v_add_f64 v[2:3], v[2:3], v[14:15]
	v_add_f64 v[14:15], v[14:15], -v[22:23]
	v_add_f64 v[0:1], v[0:1], v[20:21]
	v_add_f64 v[2:3], v[2:3], v[22:23]
	v_fma_f64 v[8:9], v[14:15], s[0:1], v[10:11]
	v_fma_f64 v[20:21], v[14:15], s[4:5], v[10:11]
	;; [unrolled: 1-line block ×4, first 2 shown]
	v_add_f64 v[12:13], v[28:29], v[68:69]
	v_add_f64 v[14:15], v[30:31], v[60:61]
	s_waitcnt lgkmcnt(0)
	v_fma_f64 v[12:13], v[12:13], -0.5, v[4:5]
	v_fma_f64 v[14:15], v[14:15], -0.5, v[6:7]
	v_add_f64 v[6:7], v[6:7], v[30:31]
	v_add_f64 v[4:5], v[4:5], v[28:29]
	v_add_f64 v[30:31], v[30:31], -v[60:61]
	v_add_f64 v[28:29], v[28:29], -v[68:69]
	v_add_f64 v[6:7], v[6:7], v[60:61]
	v_add_f64 v[4:5], v[4:5], v[68:69]
	v_fma_f64 v[60:61], v[30:31], s[0:1], v[12:13]
	v_fma_f64 v[64:65], v[30:31], s[4:5], v[12:13]
	;; [unrolled: 1-line block ×4, first 2 shown]
	v_add_f64 v[12:13], v[16:17], v[24:25]
	v_add_f64 v[14:15], v[18:19], v[26:27]
	ds_read_b128 v[68:71], v100 offset:1664
	ds_read_b128 v[72:75], v100 offset:2496
	;; [unrolled: 1-line block ×6, first 2 shown]
	s_waitcnt lgkmcnt(0)
	s_barrier
	buffer_gl0_inv
	v_add_f64 v[28:29], v[70:71], v[18:19]
	v_fma_f64 v[12:13], v[12:13], -0.5, v[68:69]
	v_fma_f64 v[14:15], v[14:15], -0.5, v[70:71]
	v_add_f64 v[30:31], v[68:69], v[16:17]
	v_add_f64 v[18:19], v[18:19], -v[26:27]
	v_add_f64 v[16:17], v[16:17], -v[24:25]
	v_add_f64 v[70:71], v[28:29], v[26:27]
	v_add_f64 v[68:69], v[30:31], v[24:25]
	v_fma_f64 v[76:77], v[18:19], s[0:1], v[12:13]
	v_fma_f64 v[80:81], v[18:19], s[4:5], v[12:13]
	;; [unrolled: 1-line block ×4, first 2 shown]
	v_add_f64 v[12:13], v[32:33], v[84:85]
	v_add_f64 v[14:15], v[34:35], v[86:87]
	;; [unrolled: 1-line block ×4, first 2 shown]
	v_add_f64 v[24:25], v[34:35], -v[86:87]
	v_fma_f64 v[12:13], v[12:13], -0.5, v[72:73]
	v_fma_f64 v[14:15], v[14:15], -0.5, v[74:75]
	v_add_f64 v[74:75], v[16:17], v[86:87]
	v_add_f64 v[16:17], v[32:33], -v[84:85]
	v_add_f64 v[72:73], v[18:19], v[84:85]
	v_add_f64 v[18:19], v[92:93], v[101:102]
	v_fma_f64 v[84:85], v[24:25], s[0:1], v[12:13]
	v_fma_f64 v[88:89], v[24:25], s[4:5], v[12:13]
	v_add_f64 v[12:13], v[101:102], v[105:106]
	v_fma_f64 v[86:87], v[16:17], s[4:5], v[14:15]
	v_fma_f64 v[90:91], v[16:17], s[0:1], v[14:15]
	ds_write_b128 v100, v[0:3]
	ds_write_b128 v100, v[8:11] offset:1664
	ds_write_b128 v100, v[20:23] offset:3328
	ds_write_b128 v100, v[4:7] offset:832
	ds_write_b128 v100, v[60:63] offset:2496
	ds_write_b128 v100, v[64:67] offset:4160
	ds_write_b128 v100, v[68:71] offset:4992
	ds_write_b128 v100, v[76:79] offset:6656
	ds_write_b128 v100, v[80:83] offset:8320
	ds_write_b128 v100, v[72:75] offset:5824
	ds_write_b128 v100, v[84:87] offset:7488
	ds_write_b128 v100, v[88:91] offset:9152
	buffer_load_dword v0, off, s[48:51], 0 offset:920 ; 4-byte Folded Reload
	v_add_f64 v[14:15], v[103:104], v[107:108]
	v_add_f64 v[16:17], v[94:95], v[103:104]
	v_add_f64 v[24:25], v[103:104], -v[107:108]
	v_add_f64 v[4:5], v[96:97], v[117:118]
	v_add_f64 v[8:9], v[119:120], -v[123:124]
	v_fma_f64 v[12:13], v[12:13], -0.5, v[92:93]
	v_add_f64 v[92:93], v[18:19], v[105:106]
	v_fma_f64 v[14:15], v[14:15], -0.5, v[94:95]
	v_add_f64 v[94:95], v[16:17], v[107:108]
	v_add_f64 v[16:17], v[101:102], -v[105:106]
	v_fma_f64 v[101:102], v[24:25], s[0:1], v[12:13]
	v_fma_f64 v[105:106], v[24:25], s[4:5], v[12:13]
	v_add_f64 v[12:13], v[117:118], -v[121:122]
	v_fma_f64 v[103:104], v[16:17], s[4:5], v[14:15]
	v_fma_f64 v[107:108], v[16:17], s[0:1], v[14:15]
	s_waitcnt vmcnt(0)
	ds_write_b128 v0, v[92:95] offset:9984
	ds_write_b128 v0, v[101:104] offset:11648
	ds_write_b128 v0, v[105:108] offset:13312
	v_add_f64 v[0:1], v[117:118], v[121:122]
	v_fma_f64 v[6:7], v[0:1], -0.5, v[96:97]
	v_add_f64 v[0:1], v[119:120], v[123:124]
	v_fma_f64 v[10:11], v[0:1], -0.5, v[98:99]
	v_add_f64 v[0:1], v[98:99], v[119:120]
	v_add_f64 v[2:3], v[0:1], v[123:124]
	;; [unrolled: 1-line block ×3, first 2 shown]
	v_fma_f64 v[4:5], v[8:9], s[0:1], v[6:7]
	v_fma_f64 v[8:9], v[8:9], s[4:5], v[6:7]
	;; [unrolled: 1-line block ×4, first 2 shown]
	buffer_load_dword v12, off, s[48:51], 0 offset:916 ; 4-byte Folded Reload
	s_waitcnt vmcnt(0)
	ds_write_b128 v12, v[0:3] offset:9984
	ds_write_b128 v12, v[4:7] offset:11648
	ds_write_b128 v12, v[8:11] offset:13312
	v_add_f64 v[0:1], v[125:126], v[129:130]
	v_add_f64 v[4:5], v[109:110], v[125:126]
	v_add_f64 v[8:9], v[127:128], -v[131:132]
	v_add_f64 v[12:13], v[125:126], -v[129:130]
	v_fma_f64 v[6:7], v[0:1], -0.5, v[109:110]
	v_add_f64 v[0:1], v[127:128], v[131:132]
	v_fma_f64 v[10:11], v[0:1], -0.5, v[111:112]
	v_add_f64 v[0:1], v[111:112], v[127:128]
	v_add_f64 v[2:3], v[0:1], v[131:132]
	;; [unrolled: 1-line block ×3, first 2 shown]
	v_fma_f64 v[4:5], v[8:9], s[0:1], v[6:7]
	v_fma_f64 v[8:9], v[8:9], s[4:5], v[6:7]
	v_fma_f64 v[6:7], v[12:13], s[4:5], v[10:11]
	v_fma_f64 v[10:11], v[12:13], s[0:1], v[10:11]
	buffer_load_dword v12, off, s[48:51], 0 offset:912 ; 4-byte Folded Reload
	s_waitcnt vmcnt(0)
	ds_write_b128 v12, v[0:3] offset:14976
	ds_write_b128 v12, v[4:7] offset:16640
	;; [unrolled: 1-line block ×3, first 2 shown]
	v_add_f64 v[0:1], v[133:134], v[137:138]
	v_add_f64 v[4:5], v[113:114], v[133:134]
	v_add_f64 v[8:9], v[135:136], -v[139:140]
	v_add_f64 v[12:13], v[133:134], -v[137:138]
	v_fma_f64 v[6:7], v[0:1], -0.5, v[113:114]
	v_add_f64 v[0:1], v[135:136], v[139:140]
	v_fma_f64 v[10:11], v[0:1], -0.5, v[115:116]
	v_add_f64 v[0:1], v[115:116], v[135:136]
	v_add_f64 v[2:3], v[0:1], v[139:140]
	;; [unrolled: 1-line block ×3, first 2 shown]
	v_fma_f64 v[4:5], v[8:9], s[0:1], v[6:7]
	v_fma_f64 v[8:9], v[8:9], s[4:5], v[6:7]
	;; [unrolled: 1-line block ×4, first 2 shown]
	buffer_load_dword v12, off, s[48:51], 0 offset:908 ; 4-byte Folded Reload
	s_mov_b32 s0, 0x1a41a41a
	s_mov_b32 s1, 0x3f4a41a4
	s_mul_hi_u32 s4, s8, 0xffffdc40
	s_mul_i32 s5, s9, 0xffffdc40
	s_sub_i32 s4, s4, s8
	s_waitcnt vmcnt(0)
	ds_write_b128 v12, v[0:3] offset:14976
	ds_write_b128 v12, v[4:7] offset:16640
	;; [unrolled: 1-line block ×3, first 2 shown]
	s_waitcnt lgkmcnt(0)
	s_barrier
	buffer_gl0_inv
	ds_read_b128 v[0:3], v100 offset:9984
	ds_read_b128 v[4:7], v100 offset:10816
	s_add_i32 s4, s4, s5
	s_mul_i32 s5, s8, 0xffffdc40
	s_waitcnt lgkmcnt(1)
	v_mul_f64 v[8:9], v[190:191], v[2:3]
	v_fma_f64 v[12:13], v[188:189], v[0:1], v[8:9]
	v_mul_f64 v[0:1], v[190:191], v[0:1]
	v_fma_f64 v[14:15], v[188:189], v[2:3], -v[0:1]
	ds_read_b128 v[0:3], v100 offset:14976
	ds_read_b128 v[8:11], v100 offset:15808
	s_waitcnt lgkmcnt(1)
	v_mul_f64 v[16:17], v[190:191], v[2:3]
	v_fma_f64 v[16:17], v[188:189], v[0:1], v[16:17]
	v_mul_f64 v[0:1], v[190:191], v[0:1]
	v_fma_f64 v[18:19], v[188:189], v[2:3], -v[0:1]
	v_mul_f64 v[0:1], v[210:211], v[6:7]
	v_fma_f64 v[20:21], v[208:209], v[4:5], v[0:1]
	v_mul_f64 v[0:1], v[210:211], v[4:5]
	v_fma_f64 v[22:23], v[208:209], v[6:7], -v[0:1]
	s_waitcnt lgkmcnt(0)
	v_mul_f64 v[0:1], v[210:211], v[10:11]
	v_fma_f64 v[24:25], v[208:209], v[8:9], v[0:1]
	v_mul_f64 v[0:1], v[210:211], v[8:9]
	v_fma_f64 v[26:27], v[208:209], v[10:11], -v[0:1]
	ds_read_b128 v[0:3], v100 offset:11648
	ds_read_b128 v[4:7], v100 offset:12480
	s_waitcnt lgkmcnt(1)
	v_mul_f64 v[8:9], v[206:207], v[2:3]
	v_fma_f64 v[28:29], v[204:205], v[0:1], v[8:9]
	v_mul_f64 v[0:1], v[206:207], v[0:1]
	v_fma_f64 v[30:31], v[204:205], v[2:3], -v[0:1]
	ds_read_b128 v[0:3], v100 offset:16640
	ds_read_b128 v[8:11], v100 offset:17472
	s_waitcnt lgkmcnt(1)
	v_mul_f64 v[32:33], v[206:207], v[2:3]
	v_fma_f64 v[32:33], v[204:205], v[0:1], v[32:33]
	v_mul_f64 v[0:1], v[206:207], v[0:1]
	v_fma_f64 v[34:35], v[204:205], v[2:3], -v[0:1]
	v_mul_f64 v[0:1], v[202:203], v[6:7]
	v_fma_f64 v[72:73], v[200:201], v[4:5], v[0:1]
	v_mul_f64 v[0:1], v[202:203], v[4:5]
	v_fma_f64 v[74:75], v[200:201], v[6:7], -v[0:1]
	s_waitcnt lgkmcnt(0)
	v_mul_f64 v[0:1], v[202:203], v[10:11]
	v_fma_f64 v[121:122], v[200:201], v[8:9], v[0:1]
	v_mul_f64 v[0:1], v[202:203], v[8:9]
	v_fma_f64 v[123:124], v[200:201], v[10:11], -v[0:1]
	ds_read_b128 v[0:3], v100 offset:13312
	ds_read_b128 v[4:7], v100 offset:14144
	s_waitcnt lgkmcnt(1)
	v_mul_f64 v[8:9], v[198:199], v[2:3]
	v_fma_f64 v[84:85], v[196:197], v[0:1], v[8:9]
	v_mul_f64 v[0:1], v[198:199], v[0:1]
	v_fma_f64 v[86:87], v[196:197], v[2:3], -v[0:1]
	ds_read_b128 v[0:3], v100 offset:18304
	ds_read_b128 v[8:11], v100 offset:19136
	s_waitcnt lgkmcnt(1)
	v_mul_f64 v[60:61], v[198:199], v[2:3]
	v_fma_f64 v[133:134], v[196:197], v[0:1], v[60:61]
	v_mul_f64 v[0:1], v[198:199], v[0:1]
	v_fma_f64 v[135:136], v[196:197], v[2:3], -v[0:1]
	v_mul_f64 v[0:1], v[194:195], v[6:7]
	v_fma_f64 v[88:89], v[192:193], v[4:5], v[0:1]
	v_mul_f64 v[0:1], v[194:195], v[4:5]
	v_fma_f64 v[90:91], v[192:193], v[6:7], -v[0:1]
	s_waitcnt lgkmcnt(0)
	v_mul_f64 v[0:1], v[194:195], v[10:11]
	v_fma_f64 v[137:138], v[192:193], v[8:9], v[0:1]
	v_mul_f64 v[0:1], v[194:195], v[8:9]
	v_fma_f64 v[139:140], v[192:193], v[10:11], -v[0:1]
	ds_read_b128 v[0:3], v100
	ds_read_b128 v[4:7], v100 offset:832
	ds_read_b128 v[60:63], v100 offset:1664
	;; [unrolled: 1-line block ×11, first 2 shown]
	s_waitcnt lgkmcnt(0)
	s_barrier
	buffer_gl0_inv
	v_add_f64 v[8:9], v[0:1], -v[12:13]
	v_add_f64 v[10:11], v[2:3], -v[14:15]
	;; [unrolled: 1-line block ×22, first 2 shown]
	v_fma_f64 v[0:1], v[0:1], 2.0, -v[8:9]
	v_fma_f64 v[2:3], v[2:3], 2.0, -v[10:11]
	v_add_f64 v[137:138], v[129:130], -v[137:138]
	v_add_f64 v[139:140], v[131:132], -v[139:140]
	v_fma_f64 v[4:5], v[4:5], 2.0, -v[20:21]
	v_fma_f64 v[6:7], v[6:7], 2.0, -v[22:23]
	;; [unrolled: 1-line block ×22, first 2 shown]
	ds_write_b128 v100, v[0:3]
	ds_write_b128 v100, v[8:11] offset:4992
	ds_write_b128 v100, v[4:7] offset:832
	;; [unrolled: 1-line block ×23, first 2 shown]
	s_waitcnt lgkmcnt(0)
	s_barrier
	buffer_gl0_inv
	ds_read_b128 v[0:3], v100 offset:9984
	ds_read_b128 v[4:7], v100 offset:10816
	s_clause 0x7
	buffer_load_dword v10, off, s[48:51], 0 offset:876
	buffer_load_dword v11, off, s[48:51], 0 offset:880
	;; [unrolled: 1-line block ×8, first 2 shown]
	s_waitcnt vmcnt(4) lgkmcnt(1)
	v_mul_f64 v[8:9], v[12:13], v[2:3]
	v_fma_f64 v[8:9], v[10:11], v[0:1], v[8:9]
	v_mul_f64 v[0:1], v[12:13], v[0:1]
	v_fma_f64 v[10:11], v[10:11], v[2:3], -v[0:1]
	s_waitcnt vmcnt(0) lgkmcnt(0)
	v_mul_f64 v[0:1], v[16:17], v[6:7]
	v_fma_f64 v[12:13], v[14:15], v[4:5], v[0:1]
	v_mul_f64 v[0:1], v[16:17], v[4:5]
	v_fma_f64 v[14:15], v[14:15], v[6:7], -v[0:1]
	ds_read_b128 v[0:3], v100 offset:11648
	ds_read_b128 v[4:7], v100 offset:12480
	s_clause 0x3
	buffer_load_dword v18, off, s[48:51], 0 offset:892
	buffer_load_dword v19, off, s[48:51], 0 offset:896
	;; [unrolled: 1-line block ×4, first 2 shown]
	s_waitcnt vmcnt(0) lgkmcnt(1)
	v_mul_f64 v[16:17], v[20:21], v[2:3]
	v_fma_f64 v[24:25], v[18:19], v[0:1], v[16:17]
	v_mul_f64 v[0:1], v[20:21], v[0:1]
	v_fma_f64 v[26:27], v[18:19], v[2:3], -v[0:1]
	s_clause 0x3
	buffer_load_dword v16, off, s[48:51], 0 offset:860
	buffer_load_dword v17, off, s[48:51], 0 offset:864
	buffer_load_dword v18, off, s[48:51], 0 offset:868
	buffer_load_dword v19, off, s[48:51], 0 offset:872
	s_waitcnt vmcnt(0) lgkmcnt(0)
	v_mul_f64 v[0:1], v[18:19], v[6:7]
	v_fma_f64 v[28:29], v[16:17], v[4:5], v[0:1]
	v_mul_f64 v[0:1], v[18:19], v[4:5]
	v_fma_f64 v[30:31], v[16:17], v[6:7], -v[0:1]
	ds_read_b128 v[0:3], v100 offset:13312
	ds_read_b128 v[4:7], v100 offset:14144
	s_clause 0x3
	buffer_load_dword v18, off, s[48:51], 0 offset:780
	buffer_load_dword v19, off, s[48:51], 0 offset:784
	;; [unrolled: 1-line block ×4, first 2 shown]
	s_waitcnt vmcnt(0) lgkmcnt(1)
	v_mul_f64 v[16:17], v[20:21], v[2:3]
	v_fma_f64 v[60:61], v[18:19], v[0:1], v[16:17]
	v_mul_f64 v[0:1], v[20:21], v[0:1]
	v_fma_f64 v[62:63], v[18:19], v[2:3], -v[0:1]
	s_clause 0x3
	buffer_load_dword v16, off, s[48:51], 0 offset:796
	buffer_load_dword v17, off, s[48:51], 0 offset:800
	;; [unrolled: 1-line block ×4, first 2 shown]
	s_waitcnt vmcnt(0) lgkmcnt(0)
	v_mul_f64 v[0:1], v[18:19], v[6:7]
	v_fma_f64 v[64:65], v[16:17], v[4:5], v[0:1]
	v_mul_f64 v[0:1], v[18:19], v[4:5]
	v_fma_f64 v[66:67], v[16:17], v[6:7], -v[0:1]
	ds_read_b128 v[0:3], v100 offset:14976
	ds_read_b128 v[4:7], v100 offset:15808
	s_clause 0x3
	buffer_load_dword v18, off, s[48:51], 0 offset:812
	buffer_load_dword v19, off, s[48:51], 0 offset:816
	;; [unrolled: 1-line block ×4, first 2 shown]
	s_waitcnt vmcnt(0) lgkmcnt(1)
	v_mul_f64 v[16:17], v[20:21], v[2:3]
	v_fma_f64 v[68:69], v[18:19], v[0:1], v[16:17]
	v_mul_f64 v[0:1], v[20:21], v[0:1]
	v_fma_f64 v[70:71], v[18:19], v[2:3], -v[0:1]
	s_waitcnt lgkmcnt(0)
	v_mul_f64 v[0:1], v[42:43], v[6:7]
	v_fma_f64 v[72:73], v[40:41], v[4:5], v[0:1]
	v_mul_f64 v[0:1], v[42:43], v[4:5]
	v_fma_f64 v[74:75], v[40:41], v[6:7], -v[0:1]
	ds_read_b128 v[0:3], v100 offset:16640
	ds_read_b128 v[4:7], v100 offset:17472
	s_waitcnt lgkmcnt(1)
	v_mul_f64 v[16:17], v[46:47], v[2:3]
	v_fma_f64 v[76:77], v[44:45], v[0:1], v[16:17]
	v_mul_f64 v[0:1], v[46:47], v[0:1]
	v_fma_f64 v[78:79], v[44:45], v[2:3], -v[0:1]
	s_waitcnt lgkmcnt(0)
	v_mul_f64 v[0:1], v[50:51], v[6:7]
	v_fma_f64 v[80:81], v[48:49], v[4:5], v[0:1]
	v_mul_f64 v[0:1], v[50:51], v[4:5]
	v_fma_f64 v[82:83], v[48:49], v[6:7], -v[0:1]
	ds_read_b128 v[0:3], v100 offset:18304
	ds_read_b128 v[4:7], v100 offset:19136
	s_waitcnt lgkmcnt(1)
	v_mul_f64 v[16:17], v[58:59], v[2:3]
	v_fma_f64 v[88:89], v[56:57], v[0:1], v[16:17]
	v_mul_f64 v[0:1], v[58:59], v[0:1]
	v_fma_f64 v[90:91], v[56:57], v[2:3], -v[0:1]
	s_waitcnt lgkmcnt(0)
	v_mul_f64 v[0:1], v[54:55], v[6:7]
	v_fma_f64 v[92:93], v[52:53], v[4:5], v[0:1]
	v_mul_f64 v[0:1], v[54:55], v[4:5]
	v_fma_f64 v[94:95], v[52:53], v[6:7], -v[0:1]
	ds_read_b128 v[0:3], v100
	ds_read_b128 v[4:7], v100 offset:832
	ds_read_b128 v[16:19], v100 offset:1664
	;; [unrolled: 1-line block ×7, first 2 shown]
	s_waitcnt lgkmcnt(7)
	v_add_f64 v[8:9], v[0:1], -v[8:9]
	v_add_f64 v[10:11], v[2:3], -v[10:11]
	s_waitcnt lgkmcnt(3)
	v_add_f64 v[40:41], v[32:33], -v[60:61]
	s_waitcnt lgkmcnt(2)
	v_add_f64 v[44:45], v[36:37], -v[64:65]
	v_add_f64 v[46:47], v[38:39], -v[66:67]
	s_waitcnt lgkmcnt(1)
	v_add_f64 v[56:57], v[48:49], -v[68:69]
	v_add_f64 v[58:59], v[50:51], -v[70:71]
	ds_read_b128 v[64:67], v100 offset:6656
	ds_read_b128 v[68:71], v100 offset:7488
	v_add_f64 v[42:43], v[34:35], -v[62:63]
	s_waitcnt lgkmcnt(2)
	v_add_f64 v[60:61], v[52:53], -v[72:73]
	v_add_f64 v[62:63], v[54:55], -v[74:75]
	;; [unrolled: 1-line block ×8, first 2 shown]
	v_fma_f64 v[0:1], v[0:1], 2.0, -v[8:9]
	v_fma_f64 v[2:3], v[2:3], 2.0, -v[10:11]
	;; [unrolled: 1-line block ×4, first 2 shown]
	s_waitcnt lgkmcnt(1)
	v_add_f64 v[72:73], v[64:65], -v[76:77]
	v_add_f64 v[74:75], v[66:67], -v[78:79]
	s_waitcnt lgkmcnt(0)
	v_add_f64 v[76:77], v[68:69], -v[80:81]
	v_add_f64 v[78:79], v[70:71], -v[82:83]
	ds_read_b128 v[80:83], v100 offset:8320
	ds_read_b128 v[84:87], v100 offset:9152
	v_fma_f64 v[34:35], v[34:35], 2.0, -v[42:43]
	v_fma_f64 v[38:39], v[38:39], 2.0, -v[46:47]
	;; [unrolled: 1-line block ×13, first 2 shown]
	s_waitcnt lgkmcnt(1)
	v_add_f64 v[88:89], v[80:81], -v[88:89]
	v_add_f64 v[90:91], v[82:83], -v[90:91]
	s_waitcnt lgkmcnt(0)
	v_add_f64 v[92:93], v[84:85], -v[92:93]
	v_add_f64 v[94:95], v[86:87], -v[94:95]
	v_fma_f64 v[66:67], v[66:67], 2.0, -v[74:75]
	v_fma_f64 v[68:69], v[68:69], 2.0, -v[76:77]
	;; [unrolled: 1-line block ×7, first 2 shown]
	ds_write_b128 v100, v[0:3]
	ds_write_b128 v100, v[8:11] offset:9984
	ds_write_b128 v100, v[4:7] offset:832
	ds_write_b128 v100, v[12:15] offset:10816
	ds_write_b128 v100, v[16:19] offset:1664
	ds_write_b128 v100, v[24:27] offset:11648
	ds_write_b128 v100, v[20:23] offset:2496
	ds_write_b128 v100, v[28:31] offset:12480
	ds_write_b128 v100, v[32:35] offset:3328
	ds_write_b128 v100, v[40:43] offset:13312
	ds_write_b128 v100, v[36:39] offset:4160
	ds_write_b128 v100, v[44:47] offset:14144
	ds_write_b128 v100, v[48:51] offset:4992
	ds_write_b128 v100, v[56:59] offset:14976
	ds_write_b128 v100, v[52:55] offset:5824
	ds_write_b128 v100, v[60:63] offset:15808
	ds_write_b128 v100, v[64:67] offset:6656
	ds_write_b128 v100, v[72:75] offset:16640
	ds_write_b128 v100, v[68:71] offset:7488
	ds_write_b128 v100, v[76:79] offset:17472
	ds_write_b128 v100, v[80:83] offset:8320
	ds_write_b128 v100, v[88:91] offset:18304
	ds_write_b128 v100, v[84:87] offset:9152
	ds_write_b128 v100, v[92:95] offset:19136
	s_waitcnt lgkmcnt(0)
	s_barrier
	buffer_gl0_inv
	ds_read_b128 v[0:3], v100
	ds_read_b128 v[4:7], v100 offset:832
	s_clause 0x3
	buffer_load_dword v16, off, s[48:51], 0 offset:372
	buffer_load_dword v17, off, s[48:51], 0 offset:376
	;; [unrolled: 1-line block ×4, first 2 shown]
	ds_read_b128 v[8:11], v100 offset:9984
	s_waitcnt vmcnt(0) lgkmcnt(2)
	v_mul_f64 v[12:13], v[18:19], v[2:3]
	v_mul_f64 v[14:15], v[18:19], v[0:1]
	v_fma_f64 v[12:13], v[16:17], v[0:1], v[12:13]
	v_fma_f64 v[14:15], v[16:17], v[2:3], -v[14:15]
	ds_read_b128 v[0:3], v100 offset:10816
	s_clause 0x7
	buffer_load_dword v24, off, s[48:51], 0 offset:420
	buffer_load_dword v25, off, s[48:51], 0 offset:424
	;; [unrolled: 1-line block ×8, first 2 shown]
	s_waitcnt vmcnt(4) lgkmcnt(1)
	v_mul_f64 v[16:17], v[26:27], v[10:11]
	v_mul_f64 v[18:19], v[26:27], v[8:9]
	s_waitcnt vmcnt(0)
	v_mul_f64 v[20:21], v[30:31], v[6:7]
	v_mul_f64 v[22:23], v[30:31], v[4:5]
	v_fma_f64 v[16:17], v[24:25], v[8:9], v[16:17]
	v_fma_f64 v[18:19], v[24:25], v[10:11], -v[18:19]
	ds_read_b128 v[8:11], v100 offset:1664
	s_clause 0x3
	buffer_load_dword v32, off, s[48:51], 0 offset:404
	buffer_load_dword v33, off, s[48:51], 0 offset:408
	;; [unrolled: 1-line block ×4, first 2 shown]
	v_fma_f64 v[20:21], v[28:29], v[4:5], v[20:21]
	v_fma_f64 v[28:29], v[28:29], v[6:7], -v[22:23]
	ds_read_b128 v[4:7], v100 offset:2496
	s_clause 0x3
	buffer_load_dword v38, off, s[48:51], 0 offset:276
	buffer_load_dword v39, off, s[48:51], 0 offset:280
	;; [unrolled: 1-line block ×4, first 2 shown]
	s_waitcnt vmcnt(4) lgkmcnt(2)
	v_mul_f64 v[24:25], v[34:35], v[2:3]
	v_mul_f64 v[26:27], v[34:35], v[0:1]
	s_waitcnt vmcnt(0) lgkmcnt(1)
	v_mul_f64 v[22:23], v[40:41], v[10:11]
	v_mul_f64 v[30:31], v[40:41], v[8:9]
	v_fma_f64 v[24:25], v[32:33], v[0:1], v[24:25]
	v_fma_f64 v[26:27], v[32:33], v[2:3], -v[26:27]
	ds_read_b128 v[0:3], v100 offset:11648
	s_clause 0x2
	buffer_load_dword v32, off, s[48:51], 0 offset:40
	buffer_load_dword v33, off, s[48:51], 0 offset:44
	buffer_load_dword v42, off, s[48:51], 0
	v_fma_f64 v[36:37], v[38:39], v[8:9], v[22:23]
	v_fma_f64 v[30:31], v[38:39], v[10:11], -v[30:31]
	ds_read_b128 v[8:11], v100 offset:12480
	s_clause 0xb
	buffer_load_dword v43, off, s[48:51], 0 offset:388
	buffer_load_dword v44, off, s[48:51], 0 offset:392
	;; [unrolled: 1-line block ×12, first 2 shown]
	s_waitcnt vmcnt(14)
	v_mov_b32_e32 v40, v32
	s_waitcnt vmcnt(12)
	v_mad_u64_u32 v[34:35], null, s8, v42, 0
	v_mad_u64_u32 v[32:33], null, s10, v40, 0
	s_waitcnt vmcnt(8) lgkmcnt(1)
	v_mul_f64 v[22:23], v[45:46], v[2:3]
	v_mul_f64 v[38:39], v[45:46], v[0:1]
	v_mad_u64_u32 v[40:41], null, s11, v40, v[33:34]
	v_mov_b32_e32 v33, v35
	v_mad_u64_u32 v[41:42], null, s9, v42, v[33:34]
	v_mov_b32_e32 v33, v40
	v_lshlrev_b64 v[32:33], 4, v[32:33]
	v_mov_b32_e32 v35, v41
	v_fma_f64 v[40:41], v[43:44], v[0:1], v[22:23]
	s_waitcnt vmcnt(4)
	v_mul_f64 v[22:23], v[50:51], v[6:7]
	v_mul_f64 v[0:1], v[12:13], s[0:1]
	v_fma_f64 v[38:39], v[43:44], v[2:3], -v[38:39]
	v_add_co_u32 v60, vcc_lo, s2, v32
	v_lshlrev_b64 v[12:13], 4, v[34:35]
	v_add_co_ci_u32_e32 v61, vcc_lo, s3, v33, vcc_lo
	s_waitcnt vmcnt(0) lgkmcnt(0)
	v_mul_f64 v[32:33], v[56:57], v[10:11]
	v_mul_f64 v[34:35], v[56:57], v[8:9]
	;; [unrolled: 1-line block ×3, first 2 shown]
	v_add_co_u32 v44, vcc_lo, v60, v12
	v_add_co_ci_u32_e32 v45, vcc_lo, v61, v13, vcc_lo
	v_mul_f64 v[12:13], v[16:17], s[0:1]
	v_mul_f64 v[16:17], v[20:21], s[0:1]
	;; [unrolled: 1-line block ×4, first 2 shown]
	s_mul_i32 s2, s9, 0x2700
	s_mul_hi_u32 s3, s8, 0x2700
	v_mul_f64 v[18:19], v[28:29], s[0:1]
	v_fma_f64 v[46:47], v[48:49], v[4:5], v[22:23]
	ds_read_b128 v[20:23], v100 offset:3328
	s_add_i32 s2, s3, s2
	s_mul_i32 s3, s8, 0x2700
	v_mul_f64 v[4:5], v[24:25], s[0:1]
	v_mul_f64 v[24:25], v[36:37], s[0:1]
	v_fma_f64 v[52:53], v[54:55], v[8:9], v[32:33]
	v_fma_f64 v[54:55], v[54:55], v[10:11], -v[34:35]
	ds_read_b128 v[8:11], v100 offset:4160
	s_clause 0x3
	buffer_load_dword v62, off, s[48:51], 0 offset:324
	buffer_load_dword v63, off, s[48:51], 0 offset:328
	;; [unrolled: 1-line block ×4, first 2 shown]
	v_fma_f64 v[42:43], v[48:49], v[6:7], -v[42:43]
	v_add_co_u32 v48, vcc_lo, v44, s3
	v_add_co_ci_u32_e32 v49, vcc_lo, s2, v45, vcc_lo
	global_store_dwordx4 v[44:45], v[0:3], off
	v_mul_f64 v[6:7], v[26:27], s[0:1]
	v_mul_f64 v[26:27], v[30:31], s[0:1]
	global_store_dwordx4 v[48:49], v[12:15], off
	ds_read_b128 v[28:31], v100 offset:13312
	ds_read_b128 v[0:3], v100 offset:14144
	v_mul_f64 v[32:33], v[40:41], s[0:1]
	v_add_co_u32 v50, vcc_lo, v48, s5
	v_mul_f64 v[34:35], v[38:39], s[0:1]
	v_add_co_ci_u32_e32 v51, vcc_lo, s4, v49, vcc_lo
	v_add_co_u32 v36, vcc_lo, v50, s3
	v_mul_f64 v[14:15], v[54:55], s[0:1]
	v_add_co_ci_u32_e32 v37, vcc_lo, s2, v51, vcc_lo
	v_add_co_u32 v38, vcc_lo, v36, s5
	v_add_co_ci_u32_e32 v39, vcc_lo, s4, v37, vcc_lo
	v_add_co_u32 v12, vcc_lo, v38, s3
	v_add_co_ci_u32_e32 v13, vcc_lo, s2, v39, vcc_lo
	s_waitcnt vmcnt(0) lgkmcnt(3)
	v_mul_f64 v[56:57], v[64:65], v[22:23]
	v_mul_f64 v[58:59], v[64:65], v[20:21]
	v_fma_f64 v[40:41], v[62:63], v[20:21], v[56:57]
	v_fma_f64 v[44:45], v[62:63], v[22:23], -v[58:59]
	s_clause 0x3
	buffer_load_dword v56, off, s[48:51], 0 offset:292
	buffer_load_dword v57, off, s[48:51], 0 offset:296
	;; [unrolled: 1-line block ×4, first 2 shown]
	global_store_dwordx4 v[50:51], v[16:19], off
	global_store_dwordx4 v[36:37], v[4:7], off
	;; [unrolled: 1-line block ×4, first 2 shown]
	ds_read_b128 v[16:19], v100 offset:4992
	ds_read_b128 v[20:23], v100 offset:14976
	v_mul_f64 v[6:7], v[42:43], s[0:1]
	v_mul_f64 v[4:5], v[46:47], s[0:1]
	v_add_co_u32 v32, vcc_lo, v12, s5
	v_add_co_ci_u32_e32 v33, vcc_lo, s4, v13, vcc_lo
	v_mul_f64 v[12:13], v[52:53], s[0:1]
	v_add_co_u32 v36, vcc_lo, v32, s3
	v_add_co_ci_u32_e32 v37, vcc_lo, s2, v33, vcc_lo
	v_add_co_u32 v50, vcc_lo, v36, s5
	v_add_co_ci_u32_e32 v51, vcc_lo, s4, v37, vcc_lo
	v_mul_f64 v[24:25], v[40:41], s[0:1]
	v_mul_f64 v[26:27], v[44:45], s[0:1]
	s_waitcnt vmcnt(0) lgkmcnt(3)
	v_mul_f64 v[48:49], v[58:59], v[30:31]
	v_mul_f64 v[34:35], v[58:59], v[28:29]
	s_clause 0x4
	buffer_load_dword v58, off, s[48:51], 0 offset:48
	buffer_load_dword v68, off, s[48:51], 0 offset:244
	buffer_load_dword v69, off, s[48:51], 0 offset:248
	buffer_load_dword v70, off, s[48:51], 0 offset:252
	buffer_load_dword v71, off, s[48:51], 0 offset:256
	v_fma_f64 v[38:39], v[56:57], v[28:29], v[48:49]
	v_fma_f64 v[34:35], v[56:57], v[30:31], -v[34:35]
	s_waitcnt vmcnt(4)
	v_mad_u64_u32 v[40:41], null, s8, v58, 0
	s_waitcnt vmcnt(0)
	v_mul_f64 v[42:43], v[70:71], v[10:11]
	v_mul_f64 v[44:45], v[70:71], v[8:9]
	s_clause 0x3
	buffer_load_dword v70, off, s[48:51], 0 offset:260
	buffer_load_dword v71, off, s[48:51], 0 offset:264
	;; [unrolled: 1-line block ×4, first 2 shown]
	ds_read_b128 v[28:31], v100 offset:5824
	s_clause 0x3
	buffer_load_dword v62, off, s[48:51], 0 offset:212
	buffer_load_dword v63, off, s[48:51], 0 offset:216
	buffer_load_dword v64, off, s[48:51], 0 offset:220
	buffer_load_dword v65, off, s[48:51], 0 offset:224
	global_store_dwordx4 v[32:33], v[4:7], off
	ds_read_b128 v[4:7], v100 offset:15808
	v_mad_u64_u32 v[58:59], null, s9, v58, v[41:42]
	v_fma_f64 v[8:9], v[68:69], v[8:9], v[42:43]
	v_fma_f64 v[10:11], v[68:69], v[10:11], -v[44:45]
	v_mov_b32_e32 v41, v58
	v_mul_f64 v[8:9], v[8:9], s[0:1]
	v_mul_f64 v[10:11], v[10:11], s[0:1]
	s_waitcnt vmcnt(4) lgkmcnt(4)
	v_mul_f64 v[46:47], v[72:73], v[2:3]
	v_mul_f64 v[48:49], v[72:73], v[0:1]
	s_waitcnt vmcnt(0) lgkmcnt(3)
	v_mul_f64 v[52:53], v[64:65], v[18:19]
	v_mul_f64 v[32:33], v[64:65], v[16:17]
	s_clause 0x3
	buffer_load_dword v64, off, s[48:51], 0 offset:228
	buffer_load_dword v65, off, s[48:51], 0 offset:232
	;; [unrolled: 1-line block ×4, first 2 shown]
	global_store_dwordx4 v[36:37], v[12:15], off
	global_store_dwordx4 v[50:51], v[24:27], off
	v_lshlrev_b64 v[25:26], 4, v[40:41]
	v_mad_u64_u32 v[36:37], null, 0x340, s8, v[50:51]
	v_mov_b32_e32 v24, v37
	v_fma_f64 v[12:13], v[70:71], v[0:1], v[46:47]
	v_mul_f64 v[0:1], v[38:39], s[0:1]
	v_fma_f64 v[38:39], v[62:63], v[16:17], v[52:53]
	v_fma_f64 v[32:33], v[62:63], v[18:19], -v[32:33]
	v_fma_f64 v[14:15], v[70:71], v[2:3], -v[48:49]
	v_mul_f64 v[2:3], v[34:35], s[0:1]
	v_mad_u64_u32 v[34:35], null, 0x340, s9, v[24:25]
	v_add_co_u32 v48, vcc_lo, v60, v25
	v_add_co_ci_u32_e32 v49, vcc_lo, v61, v26, vcc_lo
	v_add_co_u32 v52, vcc_lo, v36, s3
	v_mov_b32_e32 v37, v34
	v_add_co_ci_u32_e32 v53, vcc_lo, s2, v37, vcc_lo
	v_mul_f64 v[12:13], v[12:13], s[0:1]
	v_mul_f64 v[14:15], v[14:15], s[0:1]
	s_waitcnt vmcnt(0) lgkmcnt(2)
	v_mul_f64 v[54:55], v[66:67], v[22:23]
	v_mul_f64 v[56:57], v[66:67], v[20:21]
	v_fma_f64 v[40:41], v[64:65], v[20:21], v[54:55]
	v_fma_f64 v[42:43], v[64:65], v[22:23], -v[56:57]
	s_clause 0x7
	buffer_load_dword v62, off, s[48:51], 0 offset:148
	buffer_load_dword v63, off, s[48:51], 0 offset:152
	;; [unrolled: 1-line block ×8, first 2 shown]
	global_store_dwordx4 v[48:49], v[0:3], off
	ds_read_b128 v[16:19], v100 offset:6656
	ds_read_b128 v[0:3], v100 offset:7488
	v_mul_f64 v[20:21], v[38:39], s[0:1]
	v_mul_f64 v[22:23], v[32:33], s[0:1]
	;; [unrolled: 1-line block ×4, first 2 shown]
	v_add_co_u32 v40, vcc_lo, v52, s5
	v_add_co_ci_u32_e32 v41, vcc_lo, s4, v53, vcc_lo
	v_add_co_u32 v42, vcc_lo, v40, s3
	v_add_co_ci_u32_e32 v43, vcc_lo, s2, v41, vcc_lo
	s_waitcnt vmcnt(4) lgkmcnt(3)
	v_mul_f64 v[44:45], v[64:65], v[30:31]
	v_mul_f64 v[46:47], v[64:65], v[28:29]
	s_waitcnt vmcnt(0) lgkmcnt(2)
	v_mul_f64 v[34:35], v[56:57], v[6:7]
	v_mul_f64 v[50:51], v[56:57], v[4:5]
	v_fma_f64 v[32:33], v[62:63], v[28:29], v[44:45]
	v_fma_f64 v[38:39], v[62:63], v[30:31], -v[46:47]
	ds_read_b128 v[28:31], v100 offset:16640
	v_fma_f64 v[34:35], v[54:55], v[4:5], v[34:35]
	v_fma_f64 v[44:45], v[54:55], v[6:7], -v[50:51]
	s_clause 0x3
	buffer_load_dword v54, off, s[48:51], 0 offset:68
	buffer_load_dword v55, off, s[48:51], 0 offset:72
	;; [unrolled: 1-line block ×4, first 2 shown]
	global_store_dwordx4 v[36:37], v[8:11], off
	global_store_dwordx4 v[52:53], v[12:15], off
	;; [unrolled: 1-line block ×4, first 2 shown]
	ds_read_b128 v[8:11], v100 offset:17472
	v_add_co_u32 v42, vcc_lo, v42, s5
	v_add_co_ci_u32_e32 v43, vcc_lo, s4, v43, vcc_lo
	v_mul_f64 v[4:5], v[32:33], s[0:1]
	v_mul_f64 v[6:7], v[38:39], s[0:1]
	;; [unrolled: 1-line block ×4, first 2 shown]
	s_waitcnt vmcnt(0) lgkmcnt(3)
	v_mul_f64 v[46:47], v[56:57], v[18:19]
	v_mul_f64 v[48:49], v[56:57], v[16:17]
	s_clause 0x3
	buffer_load_dword v56, off, s[48:51], 0 offset:132
	buffer_load_dword v57, off, s[48:51], 0 offset:136
	buffer_load_dword v58, off, s[48:51], 0 offset:140
	buffer_load_dword v59, off, s[48:51], 0 offset:144
	ds_read_b128 v[12:15], v100 offset:8320
	ds_read_b128 v[20:23], v100 offset:18304
	;; [unrolled: 1-line block ×4, first 2 shown]
	s_clause 0x7
	buffer_load_dword v68, off, s[48:51], 0 offset:52
	buffer_load_dword v69, off, s[48:51], 0 offset:56
	;; [unrolled: 1-line block ×8, first 2 shown]
	v_fma_f64 v[16:17], v[54:55], v[16:17], v[46:47]
	v_fma_f64 v[18:19], v[54:55], v[18:19], -v[48:49]
	v_add_co_u32 v48, vcc_lo, v42, s3
	v_add_co_ci_u32_e32 v49, vcc_lo, s2, v43, vcc_lo
	s_waitcnt vmcnt(8) lgkmcnt(5)
	v_mul_f64 v[40:41], v[58:59], v[30:31]
	v_mul_f64 v[50:51], v[58:59], v[28:29]
	s_waitcnt vmcnt(4)
	v_mul_f64 v[44:45], v[70:71], v[2:3]
	v_mul_f64 v[46:47], v[70:71], v[0:1]
	s_waitcnt vmcnt(0) lgkmcnt(4)
	v_mul_f64 v[52:53], v[76:77], v[10:11]
	v_mul_f64 v[54:55], v[76:77], v[8:9]
	s_clause 0x7
	buffer_load_dword v70, off, s[48:51], 0 offset:84
	buffer_load_dword v71, off, s[48:51], 0 offset:88
	;; [unrolled: 1-line block ×8, first 2 shown]
	v_fma_f64 v[28:29], v[56:57], v[28:29], v[40:41]
	v_fma_f64 v[30:31], v[56:57], v[30:31], -v[50:51]
	s_waitcnt vmcnt(4) lgkmcnt(3)
	v_mul_f64 v[40:41], v[72:73], v[14:15]
	s_waitcnt vmcnt(0) lgkmcnt(2)
	v_mul_f64 v[56:57], v[78:79], v[22:23]
	v_mul_f64 v[58:59], v[78:79], v[20:21]
	s_clause 0x3
	buffer_load_dword v78, off, s[48:51], 0 offset:180
	buffer_load_dword v79, off, s[48:51], 0 offset:184
	;; [unrolled: 1-line block ×4, first 2 shown]
	v_mul_f64 v[50:51], v[72:73], v[12:13]
	v_fma_f64 v[20:21], v[76:77], v[20:21], v[56:57]
	v_fma_f64 v[22:23], v[76:77], v[22:23], -v[58:59]
	v_mul_f64 v[20:21], v[20:21], s[0:1]
	v_mul_f64 v[22:23], v[22:23], s[0:1]
	s_waitcnt vmcnt(0) lgkmcnt(1)
	v_mul_f64 v[60:61], v[80:81], v[26:27]
	v_mul_f64 v[62:63], v[80:81], v[24:25]
	s_clause 0x3
	buffer_load_dword v80, off, s[48:51], 0 offset:196
	buffer_load_dword v81, off, s[48:51], 0 offset:200
	;; [unrolled: 1-line block ×4, first 2 shown]
	global_store_dwordx4 v[42:43], v[4:7], off
	global_store_dwordx4 v[48:49], v[32:35], off
	v_fma_f64 v[34:35], v[74:75], v[8:9], v[52:53]
	v_mul_f64 v[4:5], v[16:17], s[0:1]
	v_mul_f64 v[6:7], v[18:19], s[0:1]
	v_fma_f64 v[16:17], v[68:69], v[0:1], v[44:45]
	v_fma_f64 v[18:19], v[68:69], v[2:3], -v[46:47]
	v_fma_f64 v[42:43], v[74:75], v[10:11], -v[54:55]
	v_mul_f64 v[0:1], v[28:29], s[0:1]
	v_mul_f64 v[2:3], v[30:31], s[0:1]
	v_fma_f64 v[28:29], v[70:71], v[12:13], v[40:41]
	v_fma_f64 v[30:31], v[70:71], v[14:15], -v[50:51]
	v_add_co_u32 v32, vcc_lo, v48, s5
	v_add_co_ci_u32_e32 v33, vcc_lo, s4, v49, vcc_lo
	v_add_co_u32 v40, vcc_lo, v32, s3
	v_add_co_ci_u32_e32 v41, vcc_lo, s2, v33, vcc_lo
	v_fma_f64 v[24:25], v[78:79], v[24:25], v[60:61]
	v_fma_f64 v[26:27], v[78:79], v[26:27], -v[62:63]
	v_add_co_u32 v44, vcc_lo, v40, s5
	v_add_co_ci_u32_e32 v45, vcc_lo, s4, v41, vcc_lo
	v_mul_f64 v[12:13], v[34:35], s[0:1]
	v_add_co_u32 v34, vcc_lo, v44, s3
	v_mul_f64 v[8:9], v[16:17], s[0:1]
	v_mul_f64 v[10:11], v[18:19], s[0:1]
	;; [unrolled: 1-line block ×3, first 2 shown]
	v_add_co_ci_u32_e32 v35, vcc_lo, s2, v45, vcc_lo
	v_mul_f64 v[16:17], v[28:29], s[0:1]
	v_mul_f64 v[18:19], v[30:31], s[0:1]
	global_store_dwordx4 v[32:33], v[4:7], off
	global_store_dwordx4 v[40:41], v[0:3], off
	v_mul_f64 v[24:25], v[24:25], s[0:1]
	v_mul_f64 v[26:27], v[26:27], s[0:1]
	global_store_dwordx4 v[44:45], v[8:11], off
	s_waitcnt vmcnt(0) lgkmcnt(0)
	v_mul_f64 v[64:65], v[82:83], v[38:39]
	v_mul_f64 v[66:67], v[82:83], v[36:37]
	v_fma_f64 v[36:37], v[80:81], v[36:37], v[64:65]
	v_fma_f64 v[38:39], v[80:81], v[38:39], -v[66:67]
	v_mul_f64 v[28:29], v[36:37], s[0:1]
	v_mul_f64 v[30:31], v[38:39], s[0:1]
	v_add_co_u32 v36, vcc_lo, v34, s5
	v_add_co_ci_u32_e32 v37, vcc_lo, s4, v35, vcc_lo
	v_add_co_u32 v4, vcc_lo, v36, s3
	v_add_co_ci_u32_e32 v5, vcc_lo, s2, v37, vcc_lo
	;; [unrolled: 2-line block ×4, first 2 shown]
	global_store_dwordx4 v[34:35], v[12:15], off
	global_store_dwordx4 v[36:37], v[16:19], off
	global_store_dwordx4 v[4:5], v[20:23], off
	global_store_dwordx4 v[0:1], v[24:27], off
	global_store_dwordx4 v[2:3], v[28:31], off
.LBB0_10:
	s_endpgm
	.section	.rodata,"a",@progbits
	.p2align	6, 0x0
	.amdhsa_kernel bluestein_single_fwd_len1248_dim1_dp_op_CI_CI
		.amdhsa_group_segment_fixed_size 19968
		.amdhsa_private_segment_fixed_size 1040
		.amdhsa_kernarg_size 104
		.amdhsa_user_sgpr_count 6
		.amdhsa_user_sgpr_private_segment_buffer 1
		.amdhsa_user_sgpr_dispatch_ptr 0
		.amdhsa_user_sgpr_queue_ptr 0
		.amdhsa_user_sgpr_kernarg_segment_ptr 1
		.amdhsa_user_sgpr_dispatch_id 0
		.amdhsa_user_sgpr_flat_scratch_init 0
		.amdhsa_user_sgpr_private_segment_size 0
		.amdhsa_wavefront_size32 1
		.amdhsa_uses_dynamic_stack 0
		.amdhsa_system_sgpr_private_segment_wavefront_offset 1
		.amdhsa_system_sgpr_workgroup_id_x 1
		.amdhsa_system_sgpr_workgroup_id_y 0
		.amdhsa_system_sgpr_workgroup_id_z 0
		.amdhsa_system_sgpr_workgroup_info 0
		.amdhsa_system_vgpr_workitem_id 0
		.amdhsa_next_free_vgpr 256
		.amdhsa_next_free_sgpr 52
		.amdhsa_reserve_vcc 1
		.amdhsa_reserve_flat_scratch 0
		.amdhsa_float_round_mode_32 0
		.amdhsa_float_round_mode_16_64 0
		.amdhsa_float_denorm_mode_32 3
		.amdhsa_float_denorm_mode_16_64 3
		.amdhsa_dx10_clamp 1
		.amdhsa_ieee_mode 1
		.amdhsa_fp16_overflow 0
		.amdhsa_workgroup_processor_mode 1
		.amdhsa_memory_ordered 1
		.amdhsa_forward_progress 0
		.amdhsa_shared_vgpr_count 0
		.amdhsa_exception_fp_ieee_invalid_op 0
		.amdhsa_exception_fp_denorm_src 0
		.amdhsa_exception_fp_ieee_div_zero 0
		.amdhsa_exception_fp_ieee_overflow 0
		.amdhsa_exception_fp_ieee_underflow 0
		.amdhsa_exception_fp_ieee_inexact 0
		.amdhsa_exception_int_div_zero 0
	.end_amdhsa_kernel
	.text
.Lfunc_end0:
	.size	bluestein_single_fwd_len1248_dim1_dp_op_CI_CI, .Lfunc_end0-bluestein_single_fwd_len1248_dim1_dp_op_CI_CI
                                        ; -- End function
	.section	.AMDGPU.csdata,"",@progbits
; Kernel info:
; codeLenInByte = 45276
; NumSgprs: 54
; NumVgprs: 256
; ScratchSize: 1040
; MemoryBound: 0
; FloatMode: 240
; IeeeMode: 1
; LDSByteSize: 19968 bytes/workgroup (compile time only)
; SGPRBlocks: 6
; VGPRBlocks: 31
; NumSGPRsForWavesPerEU: 54
; NumVGPRsForWavesPerEU: 256
; Occupancy: 3
; WaveLimiterHint : 1
; COMPUTE_PGM_RSRC2:SCRATCH_EN: 1
; COMPUTE_PGM_RSRC2:USER_SGPR: 6
; COMPUTE_PGM_RSRC2:TRAP_HANDLER: 0
; COMPUTE_PGM_RSRC2:TGID_X_EN: 1
; COMPUTE_PGM_RSRC2:TGID_Y_EN: 0
; COMPUTE_PGM_RSRC2:TGID_Z_EN: 0
; COMPUTE_PGM_RSRC2:TIDIG_COMP_CNT: 0
	.text
	.p2alignl 6, 3214868480
	.fill 48, 4, 3214868480
	.type	__hip_cuid_a46d6be1b14416a6,@object ; @__hip_cuid_a46d6be1b14416a6
	.section	.bss,"aw",@nobits
	.globl	__hip_cuid_a46d6be1b14416a6
__hip_cuid_a46d6be1b14416a6:
	.byte	0                               ; 0x0
	.size	__hip_cuid_a46d6be1b14416a6, 1

	.ident	"AMD clang version 19.0.0git (https://github.com/RadeonOpenCompute/llvm-project roc-6.4.0 25133 c7fe45cf4b819c5991fe208aaa96edf142730f1d)"
	.section	".note.GNU-stack","",@progbits
	.addrsig
	.addrsig_sym __hip_cuid_a46d6be1b14416a6
	.amdgpu_metadata
---
amdhsa.kernels:
  - .args:
      - .actual_access:  read_only
        .address_space:  global
        .offset:         0
        .size:           8
        .value_kind:     global_buffer
      - .actual_access:  read_only
        .address_space:  global
        .offset:         8
        .size:           8
        .value_kind:     global_buffer
      - .actual_access:  read_only
        .address_space:  global
        .offset:         16
        .size:           8
        .value_kind:     global_buffer
      - .actual_access:  read_only
        .address_space:  global
        .offset:         24
        .size:           8
        .value_kind:     global_buffer
      - .actual_access:  read_only
        .address_space:  global
        .offset:         32
        .size:           8
        .value_kind:     global_buffer
      - .offset:         40
        .size:           8
        .value_kind:     by_value
      - .address_space:  global
        .offset:         48
        .size:           8
        .value_kind:     global_buffer
      - .address_space:  global
        .offset:         56
        .size:           8
        .value_kind:     global_buffer
      - .address_space:  global
        .offset:         64
        .size:           8
        .value_kind:     global_buffer
      - .address_space:  global
        .offset:         72
        .size:           8
        .value_kind:     global_buffer
      - .offset:         80
        .size:           4
        .value_kind:     by_value
      - .address_space:  global
        .offset:         88
        .size:           8
        .value_kind:     global_buffer
      - .address_space:  global
        .offset:         96
        .size:           8
        .value_kind:     global_buffer
    .group_segment_fixed_size: 19968
    .kernarg_segment_align: 8
    .kernarg_segment_size: 104
    .language:       OpenCL C
    .language_version:
      - 2
      - 0
    .max_flat_workgroup_size: 52
    .name:           bluestein_single_fwd_len1248_dim1_dp_op_CI_CI
    .private_segment_fixed_size: 1040
    .sgpr_count:     54
    .sgpr_spill_count: 0
    .symbol:         bluestein_single_fwd_len1248_dim1_dp_op_CI_CI.kd
    .uniform_work_group_size: 1
    .uses_dynamic_stack: false
    .vgpr_count:     256
    .vgpr_spill_count: 314
    .wavefront_size: 32
    .workgroup_processor_mode: 1
amdhsa.target:   amdgcn-amd-amdhsa--gfx1030
amdhsa.version:
  - 1
  - 2
...

	.end_amdgpu_metadata
